;; amdgpu-corpus repo=ROCm/aiter kind=harvested arch=n/a opt=n/a

/root/src/amdgpu-assembly/repos/ROCm__aiter/hsa/gfx942/fmha_v3_fwd/MI300/fwd_hd128_fp8_causal.co:	file format elf64-amdgpu

Disassembly of section .text:

0000000000003b00 <_ZN5aiter25fmha_fwd_hd128_fp8_causalE>:
	s_and_b32 s1, s1, 0xffff                                   // 000000003B00: 8601FF01 0000FFFF
	s_load_dwordx2 s[20:21], s[0:1], 0x0                       // 000000003B08: C0060500 00000000
	s_load_dwordx2 s[8:9], s[0:1], 0x10                        // 000000003B10: C0060200 00000010
	s_load_dwordx2 s[12:13], s[0:1], 0x20                      // 000000003B18: C0060300 00000020
	s_load_dwordx2 s[16:17], s[0:1], 0x30                      // 000000003B20: C0060400 00000030
	s_load_dwordx2 s[24:25], s[0:1], 0x40                      // 000000003B28: C0060600 00000040
	s_load_dword s28, s[0:1], 0x50                             // 000000003B30: C0020700 00000050
	s_load_dword s29, s[0:1], 0x60                             // 000000003B38: C0020740 00000060
	s_load_dword s41, s[0:1], 0x70                             // 000000003B40: C0020A40 00000070
	s_load_dword s30, s[0:1], 0x80                             // 000000003B48: C0020780 00000080
	s_load_dword s77, s[0:1], 0x90                             // 000000003B50: C0021340 00000090
	s_load_dword s78, s[0:1], 0xa0                             // 000000003B58: C0021380 000000A0
	s_load_dword s79, s[0:1], 0xb0                             // 000000003B60: C00213C0 000000B0
	s_load_dword s40, s[0:1], 0xc0                             // 000000003B68: C0020A00 000000C0
	s_load_dword s80, s[0:1], 0xd0                             // 000000003B70: C0021400 000000D0
	s_load_dword s81, s[0:1], 0xe0                             // 000000003B78: C0021440 000000E0
	s_load_dword s31, s[0:1], 0xf0                             // 000000003B80: C00207C0 000000F0
	s_load_dword s33, s[0:1], 0x100                            // 000000003B88: C0020840 00000100
	s_load_dword s7, s[0:1], 0x110                             // 000000003B90: C00201C0 00000110
	s_load_dword s76, s[0:1], 0x140                            // 000000003B98: C0021300 00000140
	s_load_dword s43, s[0:1], 0x150                            // 000000003BA0: C0020AC0 00000150
	s_load_dword s67, s[0:1], 0x160                            // 000000003BA8: C00210C0 00000160
	s_load_dword s68, s[0:1], 0x170                            // 000000003BB0: C0021100 00000170
	s_load_dword s44, s[0:1], 0x180                            // 000000003BB8: C0020B00 00000180
	s_load_dword s69, s[0:1], 0x190                            // 000000003BC0: C0021140 00000190
	s_load_dword s70, s[0:1], 0x1a0                            // 000000003BC8: C0021180 000001A0
	s_load_dwordx2 s[50:51], s[0:1], 0x1b0                     // 000000003BD0: C0060C80 000001B0
	s_load_dwordx2 s[52:53], s[0:1], 0x1c0                     // 000000003BD8: C0060D00 000001C0
	s_load_dword s71, s[0:1], 0x1d0                            // 000000003BE0: C00211C0 000001D0
	s_load_dwordx2 s[54:55], s[0:1], 0x1e0                     // 000000003BE8: C0060D80 000001E0
	s_load_dwordx2 s[56:57], s[0:1], 0x1f0                     // 000000003BF0: C0060E00 000001F0
	s_load_dwordx2 s[58:59], s[0:1], 0x200                     // 000000003BF8: C0060E80 00000200
	s_load_dwordx2 s[60:61], s[0:1], 0x210                     // 000000003C00: C0060F00 00000210
	s_load_dwordx2 s[62:63], s[0:1], 0x220                     // 000000003C08: C0060F80 00000220
	s_load_dword s82, s[0:1], 0x230                            // 000000003C10: C0021480 00000230
	s_load_dword s83, s[0:1], 0x240                            // 000000003C18: C00214C0 00000240
	s_load_dword s84, s[0:1], 0x250                            // 000000003C20: C0021500 00000250
	s_load_dword s85, s[0:1], 0x260                            // 000000003C28: C0021540 00000260
	s_load_dword s86, s[0:1], 0x270                            // 000000003C30: C0021580 00000270
	s_load_dword s87, s[0:1], 0x280                            // 000000003C38: C00215C0 00000280
	v_lshrrev_b32_e32 v1, 10, v0                               // 000000003C40: 2002008A
	v_lshrrev_b32_e32 v2, 10, v1                               // 000000003C44: 2004028A
	v_and_b32_e32 v2, 0x3ff, v2                                // 000000003C48: 260404FF 000003FF
	v_and_b32_e32 v1, 0x3ff, v1                                // 000000003C50: 260202FF 000003FF
	v_and_b32_e32 v0, 0x3ff, v0                                // 000000003C58: 260000FF 000003FF
	v_lshrrev_b32_e32 v3, 6, v0                                // 000000003C60: 20060086
	v_and_b32_e32 v0, 63, v0                                   // 000000003C64: 260000BF
	s_mov_b32 s2, s2                                           // 000000003C68: BE820002
	s_mov_b32 s3, s3                                           // 000000003C6C: BE830003
	s_mov_b32 s4, s4                                           // 000000003C70: BE840004
	v_readfirstlane_b32 s5, v3                                 // 000000003C74: 7E0A0503
	s_waitcnt lgkmcnt(0)                                       // 000000003C78: BF8CC07F
	s_nop 0                                                    // 000000003C7C: BF800000
	s_lshr_b32 s34, s31, 1                                     // 000000003C80: 8F22811F
	s_and_b32 s34, 3, s34                                      // 000000003C84: 86222283
	s_cmp_lt_u32 s34, 1                                        // 000000003C88: BF0A8122
	s_cbranch_scc1 label_0080                                  // 000000003C8C: BF85001C
	s_add_u32 s35, s29, 0xff                                   // 000000003C90: 8023FF1D 000000FF
	s_lshr_b32 s35, s35, 8                                     // 000000003C98: 8F238823
	s_add_u32 s35, s35, 1                                      // 000000003C9C: 80238123
	s_lshr_b32 s6, s35, 1                                      // 000000003CA0: 8F068123
	s_cmp_eq_u32 s34, 2                                        // 000000003CA4: BF068222
	s_cbranch_scc1 label_0073                                  // 000000003CA8: BF850008
	s_lshr_b32 s35, s6, 3                                      // 000000003CAC: 8F238306
	s_lshr_b32 s36, s2, 3                                      // 000000003CB0: 8F248302
	s_and_b32 s34, s2, 7                                       // 000000003CB4: 86228702
	s_mul_i32 s34, s34, s35                                    // 000000003CB8: 92222322
	s_add_u32 s34, s36, s34                                    // 000000003CBC: 80222224
	s_cmp_lt_i32 s36, s35                                      // 000000003CC0: BF042324
	s_cselect_b32 s2, s34, s2                                  // 000000003CC4: 85020222
	s_branch label_0080                                        // 000000003CC8: BF82000D

0000000000003ccc <label_0073>:
	s_and_b32 s34, s3, 7                                       // 000000003CCC: 86228703
	s_mul_i32 s34, s34, s6                                     // 000000003CD0: 92220622
	s_add_u32 s34, s34, s2                                     // 000000003CD4: 80220222
	s_and_b32 s35, s34, 7                                      // 000000003CD8: 86238722
	s_lshr_b32 s2, s34, 3                                      // 000000003CDC: 8F028322
	s_and_b32 s3, s3, -8                                       // 000000003CE0: 8603C803
	s_add_u32 s3, s3, s35                                      // 000000003CE4: 80032303
	s_nop 0                                                    // 000000003CE8: BF800000
	s_nop 0                                                    // 000000003CEC: BF800000
	s_nop 0                                                    // 000000003CF0: BF800000
	s_nop 0                                                    // 000000003CF4: BF800000
	s_nop 0                                                    // 000000003CF8: BF800000
	s_nop 0                                                    // 000000003CFC: BF800000

0000000000003d00 <label_0080>:
	s_mul_i32 s34, s29, s41                                    // 000000003D00: 9222291D
	s_mov_b32 s10, s34                                         // 000000003D04: BE8A0022
	s_mul_i32 s34, s29, s44                                    // 000000003D08: 92222C1D
	s_mov_b32 s22, s34                                         // 000000003D0C: BE960022
	s_mul_i32 s34, s7, s40                                     // 000000003D10: 92222807
	s_mov_b32 s14, s34                                         // 000000003D14: BE8E0022
	s_mul_i32 s34, s7, s43                                     // 000000003D18: 92222B07
	s_mov_b32 s18, s34                                         // 000000003D1C: BE920022
	s_mul_i32 s34, s29, 4                                      // 000000003D20: 9222841D
	s_mov_b32 s26, s34                                         // 000000003D24: BE9A0022
	s_mov_b32 s23, 0x20000                                     // 000000003D28: BE9700FF 00020000
	s_mov_b32 s11, 0x20000                                     // 000000003D30: BE8B00FF 00020000
	s_mov_b32 s15, 0x20000                                     // 000000003D38: BE8F00FF 00020000
	s_mov_b32 s19, 0x20000                                     // 000000003D40: BE9300FF 00020000
	s_mov_b32 s27, 0x20000                                     // 000000003D48: BE9B00FF 00020000
	s_and_b32 s21, s21, 0xffff                                 // 000000003D50: 8615FF15 0000FFFF
	s_and_b32 s9, s9, 0xffff                                   // 000000003D58: 8609FF09 0000FFFF
	s_and_b32 s13, s13, 0xffff                                 // 000000003D60: 860DFF0D 0000FFFF
	s_and_b32 s17, s17, 0xffff                                 // 000000003D68: 8611FF11 0000FFFF
	s_and_b32 s25, s25, 0xffff                                 // 000000003D70: 8619FF19 0000FFFF
	s_nop 0                                                    // 000000003D78: BF800000
	s_nop 0                                                    // 000000003D7C: BF800000
	s_mov_b32 s64, s3                                          // 000000003D80: BEC00003
	s_mov_b32 s65, s79                                         // 000000003D84: BEC1004F
	v_cvt_f32_u32_e32 v16, s65                                 // 000000003D88: 7E200C41
	s_sub_i32 s34, 0, s65                                      // 000000003D8C: 81A24180
	v_rcp_iflag_f32_e32 v16, v16                               // 000000003D90: 7E204710
	s_nop 0                                                    // 000000003D94: BF800000
	v_mul_f32_e32 v16, 0x4f7ffffe, v16                         // 000000003D98: 0A2020FF 4F7FFFFE
	v_cvt_u32_f32_e32 v16, v16                                 // 000000003DA0: 7E200F10
	v_mul_lo_u32 v17, s34, v16                                 // 000000003DA4: D2850011 00022022
	v_mul_hi_u32 v17, v16, v17                                 // 000000003DAC: D2860011 00022310
	v_add_u32_e32 v16, v16, v17                                // 000000003DB4: 68202310
	v_mul_hi_u32 v16, s64, v16                                 // 000000003DB8: D2860010 00022040
	v_mul_lo_u32 v17, v16, s65                                 // 000000003DC0: D2850011 00008310
	v_sub_u32_e32 v19, s64, v17                                // 000000003DC8: 6A262240
	v_add_u32_e32 v18, 1, v16                                  // 000000003DCC: 68242081
	v_cmp_le_u32_e32 vcc, s65, v19                             // 000000003DD0: 7D962641
	v_subrev_u32_e32 v17, s65, v19                             // 000000003DD4: 6C222641
	s_nop 0                                                    // 000000003DD8: BF800000
	v_cndmask_b32_e32 v16, v16, v18, vcc                       // 000000003DDC: 00202510
	v_cndmask_b32_e32 v19, v19, v17, vcc                       // 000000003DE0: 00262313
	v_add_u32_e32 v17, 1, v16                                  // 000000003DE4: 68222081
	v_cmp_le_u32_e32 vcc, s65, v19                             // 000000003DE8: 7D962641
	s_nop 1                                                    // 000000003DEC: BF800001
	v_cndmask_b32_e32 v19, v16, v17, vcc                       // 000000003DF0: 00262310
	s_nop 3                                                    // 000000003DF4: BF800003
	v_readfirstlane_b32 s66, v19                               // 000000003DF8: 7E840513
	s_nop 3                                                    // 000000003DFC: BF800003
	v_mov_b32_e32 v41, 0xffff0000                              // 000000003E00: 7E5202FF FFFF0000
	v_mov_b32_e32 v42, 0x7fff0000                              // 000000003E08: 7E5402FF 7FFF0000
	v_mov_b32_e32 v43, 0x7fff                                  // 000000003E10: 7E5602FF 00007FFF
	v_lshrrev_b32_e32 v16, 5, v0                               // 000000003E18: 20200085
	v_sub_u32_e32 v16, 1, v16                                  // 000000003E1C: 6A202081
	v_mul_i32_i24_e32 v32, 0x80, v16                           // 000000003E20: 0C4020FF 00000080
	v_and_b32_e32 v16, 31, v0                                  // 000000003E28: 2620009F
	v_mul_i32_i24_e32 v16, 4, v16                              // 000000003E2C: 0C202084
	v_add_u32_e32 v32, v16, v32                                // 000000003E30: 68404110
	s_mul_i32 s34, s4, s78                                     // 000000003E34: 92224E04
	s_mul_hi_u32 s36, s4, s78                                  // 000000003E38: 96244E04
	s_and_b32 s36, s36, 0xffff                                 // 000000003E3C: 8624FF24 0000FFFF
	s_mul_i32 s35, s3, s77                                     // 000000003E44: 92234D03
	s_add_u32 s34, s34, s35                                    // 000000003E48: 80222322
	s_add_u32 s8, s34, s8                                      // 000000003E4C: 80080822
	s_addc_u32 s9, s36, s9                                     // 000000003E50: 82090924
	s_mul_i32 s34, s4, s70                                     // 000000003E54: 92224604
	s_mul_hi_u32 s36, s4, s70                                  // 000000003E58: 96244604
	s_and_b32 s36, s36, 0xffff                                 // 000000003E5C: 8624FF24 0000FFFF
	s_mul_i32 s35, s3, s69                                     // 000000003E64: 92234503
	s_add_u32 s34, s34, s35                                    // 000000003E68: 80222322
	s_add_u32 s20, s34, s20                                    // 000000003E6C: 80141422
	s_addc_u32 s21, s36, s21                                   // 000000003E70: 82151524
	s_mul_i32 s34, s76, s71                                    // 000000003E74: 9222474C
	s_mul_i32 s34, s4, s34                                     // 000000003E78: 92222204
	s_mul_i32 s35, s3, s71                                     // 000000003E7C: 92234703
	s_nop 0                                                    // 000000003E80: BF800000
	s_add_i32 s34, s34, s35                                    // 000000003E84: 81222322
	s_add_u32 s24, s34, s24                                    // 000000003E88: 80181822
	s_addc_u32 s25, 0, s25                                     // 000000003E8C: 82191980
	s_mul_i32 s34, s4, s81                                     // 000000003E90: 92225104
	s_mul_hi_u32 s36, s4, s81                                  // 000000003E94: 96245104
	s_and_b32 s36, s36, 0xffff                                 // 000000003E98: 8624FF24 0000FFFF
	s_mul_i32 s35, s66, s80                                    // 000000003EA0: 92235042
	s_add_u32 s34, s34, s35                                    // 000000003EA4: 80222322
	s_add_u32 s12, s34, s12                                    // 000000003EA8: 800C0C22
	s_addc_u32 s13, s36, s13                                   // 000000003EAC: 820D0D24
	s_mul_i32 s34, s4, s68                                     // 000000003EB0: 92224404
	s_mul_hi_u32 s36, s4, s68                                  // 000000003EB4: 96244404
	s_and_b32 s36, s36, 0xffff                                 // 000000003EB8: 8624FF24 0000FFFF
	s_mul_i32 s35, s66, s67                                    // 000000003EC0: 92234342
	s_add_u32 s34, s34, s35                                    // 000000003EC4: 80222322
	s_add_u32 s16, s34, s16                                    // 000000003EC8: 80101022
	s_addc_u32 s17, s36, s17                                   // 000000003ECC: 82111124
	s_and_b32 s59, s59, 0xffff                                 // 000000003ED0: 863BFF3B 0000FFFF
	s_and_b32 s61, s61, 0xffff                                 // 000000003ED8: 863DFF3D 0000FFFF
	s_and_b32 s63, s63, 0xffff                                 // 000000003EE0: 863FFF3F 0000FFFF
	s_mul_i32 s34, s4, s82                                     // 000000003EE8: 92225204
	s_mul_i32 s35, s66, s83                                    // 000000003EEC: 92235342
	s_add_u32 s34, s35, s34                                    // 000000003EF0: 80222223
	s_load_dword s37, s[58:59], s34                            // 000000003EF4: C000095D 00000022
	s_mul_i32 s34, s4, s84                                     // 000000003EFC: 92225404
	s_mul_i32 s35, s66, s85                                    // 000000003F00: 92235542
	s_add_u32 s34, s35, s34                                    // 000000003F04: 80222223
	s_load_dword s38, s[60:61], s34                            // 000000003F08: C000099E 00000022
	s_mul_i32 s34, s4, s86                                     // 000000003F10: 92225604
	s_mul_i32 s35, s66, s87                                    // 000000003F14: 92235742
	s_add_u32 s34, s35, s34                                    // 000000003F18: 80222223
	s_load_dword s39, s[62:63], s34                            // 000000003F1C: C00009DF 00000022
	s_waitcnt lgkmcnt(0)                                       // 000000003F24: BF8CC07F
	s_mov_b32 s72, 0                                           // 000000003F28: BEC80080
	s_mov_b32 s73, 64                                          // 000000003F2C: BEC900C0
	s_mov_b32 s60, 0                                           // 000000003F30: BEBC0080
	s_mov_b32 s61, 0x3fb8aa3b                                  // 000000003F34: BEBD00FF 3FB8AA3B
	v_mov_b32_e32 v31, 0xff800000                              // 000000003F3C: 7E3E02FF FF800000
	s_mov_b32 s56, 0                                           // 000000003F44: BEB80080
	s_mov_b32 s57, 0                                           // 000000003F48: BEB90080
	s_mov_b32 s32, 0                                           // 000000003F4C: BEA00080
	s_mul_i32 s64, 64, s40                                     // 000000003F50: 924028C0
	s_mul_i32 s65, 64, s43                                     // 000000003F54: 92412BC0
	s_lshr_b32 s76, s7, 6                                      // 000000003F58: 8F4C8607
	s_lshl_b32 s76, s76, 6                                     // 000000003F5C: 8E4C864C
	s_mov_b32 s67, 0x7060302                                   // 000000003F60: BEC300FF 07060302
	s_mov_b32 s68, 0x5040100                                   // 000000003F68: BEC400FF 05040100
	s_mov_b32 s69, 0x5010400                                   // 000000003F70: BEC500FF 05010400
	s_mov_b32 s70, 0x7030602                                   // 000000003F78: BEC600FF 07030602
	v_lshrrev_b32_e32 v16, 5, v0                               // 000000003F80: 20200085
	v_mul_i32_i24_e32 v30, 4, v16                              // 000000003F84: 0C3C2084

0000000000003f88 <label_0122>:
	s_add_u32 s62, s2, 1                                       // 000000003F88: 803E8102
	s_lshl_b32 s62, s62, 8                                     // 000000003F8C: 8E3E883E
	s_lshl_b32 s71, s2, 8                                      // 000000003F90: 8E478802
	s_sub_i32 s34, s7, s29                                     // 000000003F94: 81A21D07
	s_add_i32 s71, s71, s34                                    // 000000003F98: 81472247
	s_ashr_i32 s71, s71, 6                                     // 000000003F9C: 90478647
	s_lshl_b32 s71, s71, 6                                     // 000000003FA0: 8E478647
	s_add_i32 s62, s62, s34                                    // 000000003FA4: 813E223E
	s_cmp_lt_i32 s62, s7                                       // 000000003FA8: BF04073E
	s_cselect_b32 s62, s62, s7                                 // 000000003FAC: 853E073E
	s_cmp_lt_i32 s62, 64                                       // 000000003FB0: BF04C03E
	s_cselect_b32 s62, 64, s62                                 // 000000003FB4: 853E3EC0
	s_nop 0                                                    // 000000003FB8: BF800000
	s_nop 0                                                    // 000000003FBC: BF800000
	s_mul_i32 s34, s5, 32                                      // 000000003FC0: 9222A005
	v_lshrrev_b32_e32 v16, 5, v0                               // 000000003FC4: 20200085
	v_mul_i32_i24_e32 v16, 4, v16                              // 000000003FC8: 0C202084
	v_and_b32_e32 v29, 31, v0                                  // 000000003FCC: 263A009F
	v_sub_i32 v29, v29, v16                                    // 000000003FD0: D29D001D 0002211D
	s_nop 0                                                    // 000000003FD8: BF800000
	v_add_i32 v29, v29, s34                                    // 000000003FDC: D29C001D 0000451D
	s_mov_b32 s63, 0                                           // 000000003FE4: BEBF0080
	v_mov_b32_e32 v17, s61                                     // 000000003FE8: 7E22023D
	v_mov_b32_e32 v16, s28                                     // 000000003FEC: 7E20021C
	v_mul_f32_e32 v16, s61, v16                                // 000000003FF0: 0A20203D
	v_rcp_f32_e32 v17, v17                                     // 000000003FF4: 7E224511
	v_mov_b32_e32 v22, 0                                       // 000000003FF8: 7E2C0280
	v_mov_b32_e32 v28, 0xff7fffff                              // 000000003FFC: 7E3802FF FF7FFFFF
	v_mov_b32_e32 v20, 0                                       // 000000004004: 7E280280
	v_mov_b32_e32 v22, 0                                       // 000000004008: 7E2C0280
	v_readfirstlane_b32 s74, v16                               // 00000000400C: 7E940510
	v_readfirstlane_b32 s66, v17                               // 000000004010: 7E840511
	s_waitcnt lgkmcnt(0)                                       // 000000004014: BF8CC07F
	v_mov_b32_e32 v16, s37                                     // 000000004018: 7E200225
	v_mul_f32_e32 v16, s38, v16                                // 00000000401C: 0A202026
	v_mul_f32_e32 v17, s74, v16                                // 000000004020: 0A22204A
	v_mul_f32_e32 v19, s28, v16                                // 000000004024: 0A26201C
	v_readfirstlane_b32 s74, v17                               // 000000004028: 7E940511
	v_readfirstlane_b32 s28, v19                               // 00000000402C: 7E380513
	v_rcp_f32_e32 v16, v16                                     // 000000004030: 7E204510
	s_nop 1                                                    // 000000004034: BF800001
	v_mul_f32_e32 v16, v28, v16                                // 000000004038: 0A20211C
	v_max_f32_e32 v28, v28, v16                                // 00000000403C: 1638211C
	s_mul_i32 s42, s2, s30                                     // 000000004040: 922A1E02
	v_and_b32_e32 v16, 31, v0                                  // 000000004044: 2620009F
	v_lshlrev_b32_e32 v8, 2, v16                               // 000000004048: 24102082
	v_lshrrev_b32_e32 v16, 5, v0                               // 00000000404C: 20200085
	s_mul_i32 s34, 16, s41                                     // 000000004050: 92222990
	v_mul_i32_i24_e32 v16, s34, v16                            // 000000004054: 0C202022
	v_add_u32_e32 v8, v8, v16                                  // 000000004058: 68102108
	s_mul_i32 s34, s5, s41                                     // 00000000405C: 92222905
	v_add_u32_e32 v8, s34, v8                                  // 000000004060: 68101022
	s_mul_i32 s35, 8, s41                                      // 000000004064: 92232988
	v_add_u32_e32 v9, s35, v8                                  // 000000004068: 68121023
	v_add_u32_e32 v8, s42, v8                                  // 00000000406C: 6810102A
	v_add_u32_e32 v9, s42, v9                                  // 000000004070: 6812122A
	s_mul_i32 s34, s5, 0x110                                   // 000000004074: 9222FF05 00000110
	s_add_u32 s55, 0x4400, s34                                 // 00000000407C: 803722FF 00004400
	s_mov_b32 s75, s74                                         // 000000004084: BECB004A
	s_mov_b32 s34, 0                                           // 000000004088: BEA20080
	s_add_u32 m0, s34, s55                                     // 00000000408C: 807C3722
	s_mul_i32 s34, 0, s41                                      // 000000004090: 92222980
	v_add_u32_e32 v4, s34, v8                                  // 000000004094: 68081022
	v_add_u32_e32 v5, s34, v9                                  // 000000004098: 680A1222
	buffer_load_dword v4, s[8:11], s56 offen lds               // 00000000409C: E0511000 38020004
	s_add_u32 m0, 0x880, m0                                    // 0000000040A4: 807C7CFF 00000880
	buffer_load_dword v5, s[8:11], s56 offen lds               // 0000000040AC: E0511000 38020005
	s_add_u32 m0, 0x880, m0                                    // 0000000040B4: 807C7CFF 00000880
	s_mov_b32 s34, 0x1100                                      // 0000000040BC: BEA200FF 00001100
	s_add_u32 m0, s34, s55                                     // 0000000040C4: 807C3722
	s_mul_i32 s34, 32, s41                                     // 0000000040C8: 922229A0
	v_add_u32_e32 v4, s34, v8                                  // 0000000040CC: 68081022
	v_add_u32_e32 v5, s34, v9                                  // 0000000040D0: 680A1222
	buffer_load_dword v4, s[8:11], s56 offen lds               // 0000000040D4: E0511000 38020004
	s_add_u32 m0, 0x880, m0                                    // 0000000040DC: 807C7CFF 00000880
	buffer_load_dword v5, s[8:11], s56 offen lds               // 0000000040E4: E0511000 38020005
	s_add_u32 m0, 0x880, m0                                    // 0000000040EC: 807C7CFF 00000880
	s_mov_b32 s34, 0x2200                                      // 0000000040F4: BEA200FF 00002200
	s_add_u32 m0, s34, s55                                     // 0000000040FC: 807C3722
	s_mul_i32 s34, 64, s41                                     // 000000004100: 922229C0
	v_add_u32_e32 v4, s34, v8                                  // 000000004104: 68081022
	v_add_u32_e32 v5, s34, v9                                  // 000000004108: 680A1222
	buffer_load_dword v4, s[8:11], s56 offen lds               // 00000000410C: E0511000 38020004
	s_add_u32 m0, 0x880, m0                                    // 000000004114: 807C7CFF 00000880
	buffer_load_dword v5, s[8:11], s56 offen lds               // 00000000411C: E0511000 38020005
	s_add_u32 m0, 0x880, m0                                    // 000000004124: 807C7CFF 00000880
	s_mov_b32 s34, 0x3300                                      // 00000000412C: BEA200FF 00003300
	s_add_u32 m0, s34, s55                                     // 000000004134: 807C3722
	s_mul_i32 s34, 0x60, s41                                   // 000000004138: 922229FF 00000060
	v_add_u32_e32 v4, s34, v8                                  // 000000004140: 68081022
	v_add_u32_e32 v5, s34, v9                                  // 000000004144: 680A1222
	buffer_load_dword v4, s[8:11], s56 offen lds               // 000000004148: E0511000 38020004
	s_add_u32 m0, 0x880, m0                                    // 000000004150: 807C7CFF 00000880
	buffer_load_dword v5, s[8:11], s56 offen lds               // 000000004158: E0511000 38020005
	s_add_u32 m0, 0x880, m0                                    // 000000004160: 807C7CFF 00000880
	v_mov_b32_e32 v112, 0                                      // 000000004168: 7EE00280
	v_mov_b32_e32 v113, 0                                      // 00000000416C: 7EE20280
	v_mov_b32_e32 v114, 0                                      // 000000004170: 7EE40280
	v_mov_b32_e32 v115, 0                                      // 000000004174: 7EE60280
	v_mov_b32_e32 v116, 0                                      // 000000004178: 7EE80280
	v_mov_b32_e32 v117, 0                                      // 00000000417C: 7EEA0280
	v_mov_b32_e32 v118, 0                                      // 000000004180: 7EEC0280
	v_mov_b32_e32 v119, 0                                      // 000000004184: 7EEE0280
	v_mov_b32_e32 v120, 0                                      // 000000004188: 7EF00280
	v_mov_b32_e32 v121, 0                                      // 00000000418C: 7EF20280
	v_mov_b32_e32 v122, 0                                      // 000000004190: 7EF40280
	v_mov_b32_e32 v123, 0                                      // 000000004194: 7EF60280
	v_mov_b32_e32 v124, 0                                      // 000000004198: 7EF80280
	v_mov_b32_e32 v125, 0                                      // 00000000419C: 7EFA0280
	v_mov_b32_e32 v126, 0                                      // 0000000041A0: 7EFC0280
	v_mov_b32_e32 v127, 0                                      // 0000000041A4: 7EFE0280
	v_mov_b32_e32 v128, 0                                      // 0000000041A8: 7F000280
	v_mov_b32_e32 v129, 0                                      // 0000000041AC: 7F020280
	v_mov_b32_e32 v130, 0                                      // 0000000041B0: 7F040280
	v_mov_b32_e32 v131, 0                                      // 0000000041B4: 7F060280
	v_mov_b32_e32 v132, 0                                      // 0000000041B8: 7F080280
	v_mov_b32_e32 v133, 0                                      // 0000000041BC: 7F0A0280
	v_mov_b32_e32 v134, 0                                      // 0000000041C0: 7F0C0280
	v_mov_b32_e32 v135, 0                                      // 0000000041C4: 7F0E0280
	v_mov_b32_e32 v136, 0                                      // 0000000041C8: 7F100280
	v_mov_b32_e32 v137, 0                                      // 0000000041CC: 7F120280
	v_mov_b32_e32 v138, 0                                      // 0000000041D0: 7F140280
	v_mov_b32_e32 v139, 0                                      // 0000000041D4: 7F160280
	v_mov_b32_e32 v140, 0                                      // 0000000041D8: 7F180280
	v_mov_b32_e32 v141, 0                                      // 0000000041DC: 7F1A0280
	v_mov_b32_e32 v142, 0                                      // 0000000041E0: 7F1C0280
	v_mov_b32_e32 v143, 0                                      // 0000000041E4: 7F1E0280
	v_lshrrev_b32_e32 v16, 5, v0                               // 0000000041E8: 20200085
	v_mul_i32_i24_e32 v17, 4, v16                              // 0000000041EC: 0C222084
	v_and_b32_e32 v16, 15, v0                                  // 0000000041F0: 2620008F
	v_mul_i32_i24_e32 v2, 0x44, v16                            // 0000000041F4: 0C0420FF 00000044
	v_add_u32_e32 v2, v2, v17                                  // 0000000041FC: 68042302
	v_and_b32_e32 v16, 31, v0                                  // 000000004200: 2620009F
	v_lshrrev_b32_e32 v17, 4, v16                              // 000000004204: 20222084
	v_lshlrev_b32_e32 v16, 5, v17                              // 000000004208: 24202285
	v_add_u32_e32 v2, v2, v16                                  // 00000000420C: 68042102
	v_lshlrev_b32_e32 v2, 2, v2                                // 000000004210: 24040482
	s_and_b32 s34, 3, s5                                       // 000000004214: 86220583
	s_mul_i32 s34, s34, 0x1100                                 // 000000004218: 9222FF22 00001100
	v_add_u32_e32 v2, s34, v2                                  // 000000004220: 68040422
	s_waitcnt vmcnt(0) expcnt(0) lgkmcnt(0)                    // 000000004224: BF8C0000
	s_barrier                                                  // 000000004228: BF8A0000
	s_cmp_lt_i32 s5, 4                                         // 00000000422C: BF048405
	s_cbranch_scc0 label_01D5                                  // 000000004230: BF840008
	ds_read_b128 v[176:179], v2 offset:17408                   // 000000004234: D9FE4400 B0000002
	ds_read_b128 v[180:183], v2 offset:17440                   // 00000000423C: D9FE4420 B4000002
	ds_read_b128 v[184:187], v2 offset:17472                   // 000000004244: D9FE4440 B8000002
	ds_read_b128 v[188:191], v2 offset:17504                   // 00000000424C: D9FE4460 BC000002

0000000000004254 <label_01D5>:
	s_waitcnt vmcnt(0) expcnt(0) lgkmcnt(0)                    // 000000004254: BF8C0000
	s_barrier                                                  // 000000004258: BF8A0000
	s_mov_b32 s34, 0                                           // 00000000425C: BEA20080
	s_add_u32 m0, s34, s55                                     // 000000004260: 807C3722
	s_mul_i32 s34, 0x80, s41                                   // 000000004264: 922229FF 00000080
	v_add_u32_e32 v4, s34, v8                                  // 00000000426C: 68081022
	v_add_u32_e32 v5, s34, v9                                  // 000000004270: 680A1222
	buffer_load_dword v4, s[8:11], s56 offen lds               // 000000004274: E0511000 38020004
	s_add_u32 m0, 0x880, m0                                    // 00000000427C: 807C7CFF 00000880
	buffer_load_dword v5, s[8:11], s56 offen lds               // 000000004284: E0511000 38020005
	s_add_u32 m0, 0x880, m0                                    // 00000000428C: 807C7CFF 00000880
	s_mov_b32 s34, 0x1100                                      // 000000004294: BEA200FF 00001100
	s_add_u32 m0, s34, s55                                     // 00000000429C: 807C3722
	s_mul_i32 s34, 0xa0, s41                                   // 0000000042A0: 922229FF 000000A0
	v_add_u32_e32 v4, s34, v8                                  // 0000000042A8: 68081022
	v_add_u32_e32 v5, s34, v9                                  // 0000000042AC: 680A1222
	buffer_load_dword v4, s[8:11], s56 offen lds               // 0000000042B0: E0511000 38020004
	s_add_u32 m0, 0x880, m0                                    // 0000000042B8: 807C7CFF 00000880
	buffer_load_dword v5, s[8:11], s56 offen lds               // 0000000042C0: E0511000 38020005
	s_add_u32 m0, 0x880, m0                                    // 0000000042C8: 807C7CFF 00000880
	s_mov_b32 s34, 0x2200                                      // 0000000042D0: BEA200FF 00002200
	s_add_u32 m0, s34, s55                                     // 0000000042D8: 807C3722
	s_mul_i32 s34, 0xc0, s41                                   // 0000000042DC: 922229FF 000000C0
	v_add_u32_e32 v4, s34, v8                                  // 0000000042E4: 68081022
	v_add_u32_e32 v5, s34, v9                                  // 0000000042E8: 680A1222
	buffer_load_dword v4, s[8:11], s56 offen lds               // 0000000042EC: E0511000 38020004
	s_add_u32 m0, 0x880, m0                                    // 0000000042F4: 807C7CFF 00000880
	buffer_load_dword v5, s[8:11], s56 offen lds               // 0000000042FC: E0511000 38020005
	s_add_u32 m0, 0x880, m0                                    // 000000004304: 807C7CFF 00000880
	s_mov_b32 s34, 0x3300                                      // 00000000430C: BEA200FF 00003300
	s_add_u32 m0, s34, s55                                     // 000000004314: 807C3722
	s_mul_i32 s34, 0xe0, s41                                   // 000000004318: 922229FF 000000E0
	v_add_u32_e32 v4, s34, v8                                  // 000000004320: 68081022
	v_add_u32_e32 v5, s34, v9                                  // 000000004324: 680A1222
	buffer_load_dword v4, s[8:11], s56 offen lds               // 000000004328: E0511000 38020004
	s_add_u32 m0, 0x880, m0                                    // 000000004330: 807C7CFF 00000880
	buffer_load_dword v5, s[8:11], s56 offen lds               // 000000004338: E0511000 38020005
	s_add_u32 m0, 0x880, m0                                    // 000000004340: 807C7CFF 00000880
	v_mov_b32_e32 v144, 0                                      // 000000004348: 7F200280
	v_mov_b32_e32 v145, 0                                      // 00000000434C: 7F220280
	v_mov_b32_e32 v146, 0                                      // 000000004350: 7F240280
	v_mov_b32_e32 v147, 0                                      // 000000004354: 7F260280
	v_mov_b32_e32 v148, 0                                      // 000000004358: 7F280280
	v_mov_b32_e32 v149, 0                                      // 00000000435C: 7F2A0280
	v_mov_b32_e32 v150, 0                                      // 000000004360: 7F2C0280
	v_mov_b32_e32 v151, 0                                      // 000000004364: 7F2E0280
	v_mov_b32_e32 v152, 0                                      // 000000004368: 7F300280
	v_mov_b32_e32 v153, 0                                      // 00000000436C: 7F320280
	v_mov_b32_e32 v154, 0                                      // 000000004370: 7F340280
	v_mov_b32_e32 v155, 0                                      // 000000004374: 7F360280
	v_mov_b32_e32 v156, 0                                      // 000000004378: 7F380280
	v_mov_b32_e32 v157, 0                                      // 00000000437C: 7F3A0280
	v_mov_b32_e32 v158, 0                                      // 000000004380: 7F3C0280
	v_mov_b32_e32 v159, 0                                      // 000000004384: 7F3E0280
	v_mov_b32_e32 v160, 0                                      // 000000004388: 7F400280
	v_mov_b32_e32 v161, 0                                      // 00000000438C: 7F420280
	v_mov_b32_e32 v162, 0                                      // 000000004390: 7F440280
	v_mov_b32_e32 v163, 0                                      // 000000004394: 7F460280
	v_mov_b32_e32 v164, 0                                      // 000000004398: 7F480280
	v_mov_b32_e32 v165, 0                                      // 00000000439C: 7F4A0280
	v_mov_b32_e32 v166, 0                                      // 0000000043A0: 7F4C0280
	v_mov_b32_e32 v167, 0                                      // 0000000043A4: 7F4E0280
	v_mov_b32_e32 v168, 0                                      // 0000000043A8: 7F500280
	v_mov_b32_e32 v169, 0                                      // 0000000043AC: 7F520280
	v_mov_b32_e32 v170, 0                                      // 0000000043B0: 7F540280
	v_mov_b32_e32 v171, 0                                      // 0000000043B4: 7F560280
	v_mov_b32_e32 v172, 0                                      // 0000000043B8: 7F580280
	v_mov_b32_e32 v173, 0                                      // 0000000043BC: 7F5A0280
	v_mov_b32_e32 v174, 0                                      // 0000000043C0: 7F5C0280
	v_mov_b32_e32 v175, 0                                      // 0000000043C4: 7F5E0280
	s_cmp_le_u32 s7, 0                                         // 0000000043C8: BF0B8007
	s_cbranch_scc1 label_12BA                                  // 0000000043CC: BF851086
	v_lshrrev_b32_e32 v16, 5, v0                               // 0000000043D0: 20200085
	v_mul_i32_i24_e32 v17, 4, v16                              // 0000000043D4: 0C222084
	v_and_b32_e32 v16, 15, v0                                  // 0000000043D8: 2620008F
	v_mul_i32_i24_e32 v12, 0x44, v16                           // 0000000043DC: 0C1820FF 00000044
	v_add_u32_e32 v12, v12, v17                                // 0000000043E4: 6818230C
	v_and_b32_e32 v16, 31, v0                                  // 0000000043E8: 2620009F
	v_lshrrev_b32_e32 v17, 4, v16                              // 0000000043EC: 20222084
	v_lshlrev_b32_e32 v16, 5, v17                              // 0000000043F0: 24202285
	v_add_u32_e32 v12, v12, v16                                // 0000000043F4: 6818210C
	v_lshlrev_b32_e32 v12, 2, v12                              // 0000000043F8: 24181882
	v_lshrrev_b32_e32 v16, 5, v0                               // 0000000043FC: 20200085
	v_mul_i32_i24_e32 v17, 32, v16                             // 000000004400: 0C2220A0
	v_and_b32_e32 v16, 31, v0                                  // 000000004404: 2620009F
	v_lshrrev_b32_e32 v16, 2, v16                              // 000000004408: 20202082
	v_add_u32_e32 v13, v17, v16                                // 00000000440C: 681A2111
	v_and_b32_e32 v16, 3, v0                                   // 000000004410: 26200083
	v_mul_i32_i24_e32 v16, 0x208, v16                          // 000000004414: 0C2020FF 00000208
	v_add_u32_e32 v13, v16, v13                                // 00000000441C: 681A1B10
	v_lshlrev_b32_e32 v13, 2, v13                              // 000000004420: 241A1A82
	s_mul_i32 s34, s5, 64                                      // 000000004424: 9222C005
	v_add_u32_e32 v14, s34, v0                                 // 000000004428: 681C0022
	v_lshlrev_b32_e32 v14, 2, v14                              // 00000000442C: 241C1C82
	v_and_b32_e32 v16, 31, v0                                  // 000000004430: 2620009F
	v_lshlrev_b32_e32 v4, 2, v16                               // 000000004434: 24082082
	v_lshrrev_b32_e32 v16, 5, v0                               // 000000004438: 20200085
	s_mul_i32 s34, 16, s40                                     // 00000000443C: 92222890
	v_mul_i32_i24_e32 v16, s34, v16                            // 000000004440: 0C202022
	v_add_u32_e32 v4, v4, v16                                  // 000000004444: 68082104
	s_mul_i32 s34, s5, s40                                     // 000000004448: 92222805
	v_add_u32_e32 v4, s34, v4                                  // 00000000444C: 68080822
	s_mul_i32 s35, 8, s40                                      // 000000004450: 92232888
	v_add_u32_e32 v5, s35, v4                                  // 000000004454: 680A0823
	s_mul_i32 s34, 32, s40                                     // 000000004458: 922228A0
	v_add_u32_e32 v6, s34, v4                                  // 00000000445C: 680C0822
	v_add_u32_e32 v7, s34, v5                                  // 000000004460: 680E0A22
	s_mul_i32 s34, s5, 0x110                                   // 000000004464: 9222FF05 00000110
	s_add_u32 s54, 0, s34                                      // 00000000446C: 80362280
	s_add_u32 s55, 0x2200, s54                                 // 000000004470: 803736FF 00002200
	v_and_b32_e32 v16, 31, v0                                  // 000000004478: 2620009F
	v_lshlrev_b32_e32 v8, 2, v16                               // 00000000447C: 24102082
	v_lshrrev_b32_e32 v16, 5, v0                               // 000000004480: 20200085
	v_lshlrev_b32_e32 v16, 2, v16                              // 000000004484: 24202082
	v_mul_i32_i24_e32 v16, s43, v16                            // 000000004488: 0C20202B
	v_add_u32_e32 v8, v16, v8                                  // 00000000448C: 68101110
	s_mul_i32 s35, 8, s5                                       // 000000004490: 92230588
	s_mul_i32 s34, s35, s43                                    // 000000004494: 92222B23
	v_add_u32_e32 v8, s34, v8                                  // 000000004498: 68101022
	v_add_u32_e32 v9, s43, v8                                  // 00000000449C: 6812102B
	v_add_u32_e32 v10, s43, v9                                 // 0000000044A0: 6814122B
	v_add_u32_e32 v11, s43, v10                                // 0000000044A4: 6816142B
	s_waitcnt vmcnt(0) expcnt(0) lgkmcnt(0)                    // 0000000044A8: BF8C0000
	s_barrier                                                  // 0000000044AC: BF8A0000
	s_cmp_lt_i32 s5, 4                                         // 0000000044B0: BF048405
	s_cbranch_scc1 label_0276                                  // 0000000044B4: BF850008
	ds_read_b128 v[176:179], v2 offset:17408                   // 0000000044B8: D9FE4400 B0000002
	ds_read_b128 v[180:183], v2 offset:17440                   // 0000000044C0: D9FE4420 B4000002
	ds_read_b128 v[184:187], v2 offset:17472                   // 0000000044C8: D9FE4440 B8000002
	ds_read_b128 v[188:191], v2 offset:17504                   // 0000000044D0: D9FE4460 BC000002

00000000000044d8 <label_0276>:
	s_waitcnt vmcnt(0) expcnt(0) lgkmcnt(0)                    // 0000000044D8: BF8C0000
	s_barrier                                                  // 0000000044DC: BF8A0000
	s_mov_b32 m0, s54                                          // 0000000044E0: BEFC0036
	buffer_load_dword v4, s[12:15], s57 offen lds              // 0000000044E4: E0511000 39030004
	s_add_u32 m0, 0x880, m0                                    // 0000000044EC: 807C7CFF 00000880
	buffer_load_dword v5, s[12:15], s57 offen lds              // 0000000044F4: E0511000 39030005
	s_add_u32 m0, 0x880, m0                                    // 0000000044FC: 807C7CFF 00000880
	buffer_load_dword v6, s[12:15], s57 offen lds              // 000000004504: E0511000 39030006
	s_add_u32 m0, 0x880, m0                                    // 00000000450C: 807C7CFF 00000880
	buffer_load_dword v7, s[12:15], s57 offen lds              // 000000004514: E0511000 39030007
	s_add_u32 m0, 0x880, m0                                    // 00000000451C: 807C7CFF 00000880
	s_add_i32 s57, s64, s57                                    // 000000004524: 81393940
	s_waitcnt vmcnt(0)                                         // 000000004528: BF8C0F70
	s_barrier                                                  // 00000000452C: BF8A0000
	ds_read_b128 v[192:195], v12                               // 000000004530: D9FE0000 C000000C
	ds_read_b128 v[196:199], v12 offset:32                     // 000000004538: D9FE0020 C400000C
	ds_read_b128 v[200:203], v12 offset:64                     // 000000004540: D9FE0040 C800000C
	ds_read_b128 v[204:207], v12 offset:96                     // 000000004548: D9FE0060 CC00000C
	ds_read_b128 v[208:211], v12 offset:4352                   // 000000004550: D9FE1100 D000000C
	ds_read_b128 v[212:215], v12 offset:4384                   // 000000004558: D9FE1120 D400000C
	ds_read_b128 v[216:219], v12 offset:4416                   // 000000004560: D9FE1140 D800000C
	ds_read_b128 v[220:223], v12 offset:4448                   // 000000004568: D9FE1160 DC00000C
	s_waitcnt lgkmcnt(0)                                       // 000000004570: BF8CC07F
	s_barrier                                                  // 000000004574: BF8A0000
	s_mov_b32 m0, s55                                          // 000000004578: BEFC0037
	s_nop 0                                                    // 00000000457C: BF800000
	v_mfma_f32_32x32x16_fp8_fp8 v[48:63], v[192:193], v[176:177], 0// 000000004580: D3F70030 020361C0
	buffer_load_dword v4, s[12:15], s57 offen lds              // 000000004588: E0511000 39030004
	s_add_u32 m0, 0x880, m0                                    // 000000004590: 807C7CFF 00000880
	v_mfma_f32_32x32x16_fp8_fp8 v[48:63], v[194:195], v[178:179], v[48:63]// 000000004598: D3F70030 04C365C2
	v_mfma_f32_32x32x16_fp8_fp8 v[48:63], v[196:197], v[180:181], v[48:63]// 0000000045A0: D3F70030 04C369C4
	buffer_load_dword v5, s[12:15], s57 offen lds              // 0000000045A8: E0511000 39030005
	s_add_u32 m0, 0x880, m0                                    // 0000000045B0: 807C7CFF 00000880
	v_mfma_f32_32x32x16_fp8_fp8 v[48:63], v[198:199], v[182:183], v[48:63]// 0000000045B8: D3F70030 04C36DC6
	v_mfma_f32_32x32x16_fp8_fp8 v[48:63], v[200:201], v[184:185], v[48:63]// 0000000045C0: D3F70030 04C371C8
	buffer_load_dword v6, s[12:15], s57 offen lds              // 0000000045C8: E0511000 39030006
	s_add_u32 m0, 0x880, m0                                    // 0000000045D0: 807C7CFF 00000880
	v_mfma_f32_32x32x16_fp8_fp8 v[48:63], v[202:203], v[186:187], v[48:63]// 0000000045D8: D3F70030 04C375CA
	v_mfma_f32_32x32x16_fp8_fp8 v[48:63], v[204:205], v[188:189], v[48:63]// 0000000045E0: D3F70030 04C379CC
	buffer_load_dword v7, s[12:15], s57 offen lds              // 0000000045E8: E0511000 39030007
	s_add_u32 m0, 0x880, m0                                    // 0000000045F0: 807C7CFF 00000880
	v_mfma_f32_32x32x16_fp8_fp8 v[48:63], v[206:207], v[190:191], v[48:63]// 0000000045F8: D3F70030 04C37DCE
	v_mfma_f32_32x32x16_fp8_fp8 v[64:79], v[208:209], v[176:177], 0// 000000004600: D3F70040 020361D0
	buffer_load_dword v224, v8, s[16:19], s32 offen            // 000000004608: E0501000 2004E008
	v_mfma_f32_32x32x16_fp8_fp8 v[64:79], v[210:211], v[178:179], v[64:79]// 000000004610: D3F70040 050365D2
	v_mfma_f32_32x32x16_fp8_fp8 v[64:79], v[212:213], v[180:181], v[64:79]// 000000004618: D3F70040 050369D4
	buffer_load_dword v225, v9, s[16:19], s32 offen            // 000000004620: E0501000 2004E109
	v_mfma_f32_32x32x16_fp8_fp8 v[64:79], v[214:215], v[182:183], v[64:79]// 000000004628: D3F70040 05036DD6
	v_mfma_f32_32x32x16_fp8_fp8 v[64:79], v[216:217], v[184:185], v[64:79]// 000000004630: D3F70040 050371D8
	buffer_load_dword v226, v10, s[16:19], s32 offen           // 000000004638: E0501000 2004E20A
	v_mfma_f32_32x32x16_fp8_fp8 v[64:79], v[218:219], v[186:187], v[64:79]// 000000004640: D3F70040 050375DA
	v_mfma_f32_32x32x16_fp8_fp8 v[64:79], v[220:221], v[188:189], v[64:79]// 000000004648: D3F70040 050379DC
	buffer_load_dword v227, v11, s[16:19], s32 offen           // 000000004650: E0501000 2004E30B
	v_mfma_f32_32x32x16_fp8_fp8 v[64:79], v[222:223], v[190:191], v[64:79]// 000000004658: D3F70040 05037DDE
	s_add_i32 s57, s64, s57                                    // 000000004660: 81393940
	s_add_i32 s32, s65, s32                                    // 000000004664: 81202041
	s_cmp_lt_i32 s72, s71                                      // 000000004668: BF044748
	s_cbranch_scc1 label_03E8                                  // 00000000466C: BF85010C
	s_sub_i32 s34, s71, s72                                    // 000000004670: 81A24847
	s_sub_i32 s35, s7, s29                                     // 000000004674: 81A31D07
	s_and_b32 s35, s35, 63                                     // 000000004678: 8623BF23
	s_add_i32 s34, s34, s35                                    // 00000000467C: 81222322
	v_add_i32 v16, v29, s34                                    // 000000004680: D29C0010 0000451D
	v_cmp_lt_i32_e64 s[50:51], v16, 0                          // 000000004688: D0C10032 00010110
	v_cmp_lt_i32_e64 s[52:53], v16, 1                          // 000000004690: D0C10034 00010310
	v_cndmask_b32_e64 v48, v48, v31, s[50:51]                  // 000000004698: D1000030 00CA3F30
	v_cndmask_b32_e64 v49, v49, v31, s[52:53]                  // 0000000046A0: D1000031 00D23F31
	v_cmp_lt_i32_e64 s[50:51], v16, 2                          // 0000000046A8: D0C10032 00010510
	v_cmp_lt_i32_e64 s[52:53], v16, 3                          // 0000000046B0: D0C10034 00010710
	v_cndmask_b32_e64 v50, v50, v31, s[50:51]                  // 0000000046B8: D1000032 00CA3F32
	v_cndmask_b32_e64 v51, v51, v31, s[52:53]                  // 0000000046C0: D1000033 00D23F33
	v_cmp_lt_i32_e64 s[50:51], v16, 8                          // 0000000046C8: D0C10032 00011110
	v_cmp_lt_i32_e64 s[52:53], v16, 9                          // 0000000046D0: D0C10034 00011310
	v_cndmask_b32_e64 v52, v52, v31, s[50:51]                  // 0000000046D8: D1000034 00CA3F34
	v_cndmask_b32_e64 v53, v53, v31, s[52:53]                  // 0000000046E0: D1000035 00D23F35
	v_cmp_lt_i32_e64 s[50:51], v16, 10                         // 0000000046E8: D0C10032 00011510
	v_cmp_lt_i32_e64 s[52:53], v16, 11                         // 0000000046F0: D0C10034 00011710
	v_cndmask_b32_e64 v54, v54, v31, s[50:51]                  // 0000000046F8: D1000036 00CA3F36
	v_cndmask_b32_e64 v55, v55, v31, s[52:53]                  // 000000004700: D1000037 00D23F37
	v_cmp_lt_i32_e64 s[50:51], v16, 16                         // 000000004708: D0C10032 00012110
	v_cmp_lt_i32_e64 s[52:53], v16, 17                         // 000000004710: D0C10034 00012310
	v_cndmask_b32_e64 v56, v56, v31, s[50:51]                  // 000000004718: D1000038 00CA3F38
	v_cndmask_b32_e64 v57, v57, v31, s[52:53]                  // 000000004720: D1000039 00D23F39
	v_cmp_lt_i32_e64 s[50:51], v16, 18                         // 000000004728: D0C10032 00012510
	v_cmp_lt_i32_e64 s[52:53], v16, 19                         // 000000004730: D0C10034 00012710
	v_cndmask_b32_e64 v58, v58, v31, s[50:51]                  // 000000004738: D100003A 00CA3F3A
	v_cndmask_b32_e64 v59, v59, v31, s[52:53]                  // 000000004740: D100003B 00D23F3B
	v_cmp_lt_i32_e64 s[50:51], v16, 24                         // 000000004748: D0C10032 00013110
	v_cmp_lt_i32_e64 s[52:53], v16, 25                         // 000000004750: D0C10034 00013310
	v_cndmask_b32_e64 v60, v60, v31, s[50:51]                  // 000000004758: D100003C 00CA3F3C
	v_cndmask_b32_e64 v61, v61, v31, s[52:53]                  // 000000004760: D100003D 00D23F3D
	v_cmp_lt_i32_e64 s[50:51], v16, 26                         // 000000004768: D0C10032 00013510
	v_cmp_lt_i32_e64 s[52:53], v16, 27                         // 000000004770: D0C10034 00013710
	v_cndmask_b32_e64 v62, v62, v31, s[50:51]                  // 000000004778: D100003E 00CA3F3E
	v_cndmask_b32_e64 v63, v63, v31, s[52:53]                  // 000000004780: D100003F 00D23F3F
	v_cmp_lt_i32_e64 s[50:51], v16, 32                         // 000000004788: D0C10032 00014110
	v_cmp_lt_i32_e64 s[52:53], v16, 33                         // 000000004790: D0C10034 00014310
	v_cndmask_b32_e64 v64, v64, v31, s[50:51]                  // 000000004798: D1000040 00CA3F40
	v_cndmask_b32_e64 v65, v65, v31, s[52:53]                  // 0000000047A0: D1000041 00D23F41
	v_cmp_lt_i32_e64 s[50:51], v16, 34                         // 0000000047A8: D0C10032 00014510
	v_cmp_lt_i32_e64 s[52:53], v16, 35                         // 0000000047B0: D0C10034 00014710
	v_cndmask_b32_e64 v66, v66, v31, s[50:51]                  // 0000000047B8: D1000042 00CA3F42
	v_cndmask_b32_e64 v67, v67, v31, s[52:53]                  // 0000000047C0: D1000043 00D23F43
	v_cmp_lt_i32_e64 s[50:51], v16, 40                         // 0000000047C8: D0C10032 00015110
	v_cmp_lt_i32_e64 s[52:53], v16, 41                         // 0000000047D0: D0C10034 00015310
	v_cndmask_b32_e64 v68, v68, v31, s[50:51]                  // 0000000047D8: D1000044 00CA3F44
	v_cndmask_b32_e64 v69, v69, v31, s[52:53]                  // 0000000047E0: D1000045 00D23F45
	v_cmp_lt_i32_e64 s[50:51], v16, 42                         // 0000000047E8: D0C10032 00015510
	v_cmp_lt_i32_e64 s[52:53], v16, 43                         // 0000000047F0: D0C10034 00015710
	v_cndmask_b32_e64 v70, v70, v31, s[50:51]                  // 0000000047F8: D1000046 00CA3F46
	v_cndmask_b32_e64 v71, v71, v31, s[52:53]                  // 000000004800: D1000047 00D23F47
	v_cmp_lt_i32_e64 s[50:51], v16, 48                         // 000000004808: D0C10032 00016110
	v_cmp_lt_i32_e64 s[52:53], v16, 49                         // 000000004810: D0C10034 00016310
	v_cndmask_b32_e64 v72, v72, v31, s[50:51]                  // 000000004818: D1000048 00CA3F48
	v_cndmask_b32_e64 v73, v73, v31, s[52:53]                  // 000000004820: D1000049 00D23F49
	v_cmp_lt_i32_e64 s[50:51], v16, 50                         // 000000004828: D0C10032 00016510
	v_cmp_lt_i32_e64 s[52:53], v16, 51                         // 000000004830: D0C10034 00016710
	v_cndmask_b32_e64 v74, v74, v31, s[50:51]                  // 000000004838: D100004A 00CA3F4A
	v_cndmask_b32_e64 v75, v75, v31, s[52:53]                  // 000000004840: D100004B 00D23F4B
	v_cmp_lt_i32_e64 s[50:51], v16, 56                         // 000000004848: D0C10032 00017110
	v_cmp_lt_i32_e64 s[52:53], v16, 57                         // 000000004850: D0C10034 00017310
	v_cndmask_b32_e64 v76, v76, v31, s[50:51]                  // 000000004858: D100004C 00CA3F4C
	v_cndmask_b32_e64 v77, v77, v31, s[52:53]                  // 000000004860: D100004D 00D23F4D
	v_cmp_lt_i32_e64 s[50:51], v16, 58                         // 000000004868: D0C10032 00017510
	v_cmp_lt_i32_e64 s[52:53], v16, 59                         // 000000004870: D0C10034 00017710
	v_cndmask_b32_e64 v78, v78, v31, s[50:51]                  // 000000004878: D100004E 00CA3F4E
	v_cndmask_b32_e64 v79, v79, v31, s[52:53]                  // 000000004880: D100004F 00D23F4F
	s_nop 0                                                    // 000000004888: BF800000
	s_cmp_lt_i32 s72, s76                                      // 00000000488C: BF044C48
	s_cbranch_scc1 label_03E8                                  // 000000004890: BF850083
	s_sub_i32 s34, s7, s72                                     // 000000004894: 81A24807
	v_sub_i32 v16, s34, v30                                    // 000000004898: D29D0010 00023C22
	v_cmp_lt_i32_e64 s[50:51], 0, v16                          // 0000000048A0: D0C10032 00022080
	v_cmp_lt_i32_e64 s[52:53], 1, v16                          // 0000000048A8: D0C10034 00022081
	v_cndmask_b32_e64 v48, v31, v48, s[50:51]                  // 0000000048B0: D1000030 00CA611F
	v_cndmask_b32_e64 v49, v31, v49, s[52:53]                  // 0000000048B8: D1000031 00D2631F
	v_cmp_lt_i32_e64 s[50:51], 2, v16                          // 0000000048C0: D0C10032 00022082
	v_cmp_lt_i32_e64 s[52:53], 3, v16                          // 0000000048C8: D0C10034 00022083
	v_cndmask_b32_e64 v50, v31, v50, s[50:51]                  // 0000000048D0: D1000032 00CA651F
	v_cndmask_b32_e64 v51, v31, v51, s[52:53]                  // 0000000048D8: D1000033 00D2671F
	v_cmp_lt_i32_e64 s[50:51], 8, v16                          // 0000000048E0: D0C10032 00022088
	v_cmp_lt_i32_e64 s[52:53], 9, v16                          // 0000000048E8: D0C10034 00022089
	v_cndmask_b32_e64 v52, v31, v52, s[50:51]                  // 0000000048F0: D1000034 00CA691F
	v_cndmask_b32_e64 v53, v31, v53, s[52:53]                  // 0000000048F8: D1000035 00D26B1F
	v_cmp_lt_i32_e64 s[50:51], 10, v16                         // 000000004900: D0C10032 0002208A
	v_cmp_lt_i32_e64 s[52:53], 11, v16                         // 000000004908: D0C10034 0002208B
	v_cndmask_b32_e64 v54, v31, v54, s[50:51]                  // 000000004910: D1000036 00CA6D1F
	v_cndmask_b32_e64 v55, v31, v55, s[52:53]                  // 000000004918: D1000037 00D26F1F
	v_cmp_lt_i32_e64 s[50:51], 16, v16                         // 000000004920: D0C10032 00022090
	v_cmp_lt_i32_e64 s[52:53], 17, v16                         // 000000004928: D0C10034 00022091
	v_cndmask_b32_e64 v56, v31, v56, s[50:51]                  // 000000004930: D1000038 00CA711F
	v_cndmask_b32_e64 v57, v31, v57, s[52:53]                  // 000000004938: D1000039 00D2731F
	v_cmp_lt_i32_e64 s[50:51], 18, v16                         // 000000004940: D0C10032 00022092
	v_cmp_lt_i32_e64 s[52:53], 19, v16                         // 000000004948: D0C10034 00022093
	v_cndmask_b32_e64 v58, v31, v58, s[50:51]                  // 000000004950: D100003A 00CA751F
	v_cndmask_b32_e64 v59, v31, v59, s[52:53]                  // 000000004958: D100003B 00D2771F
	v_cmp_lt_i32_e64 s[50:51], 24, v16                         // 000000004960: D0C10032 00022098
	v_cmp_lt_i32_e64 s[52:53], 25, v16                         // 000000004968: D0C10034 00022099
	v_cndmask_b32_e64 v60, v31, v60, s[50:51]                  // 000000004970: D100003C 00CA791F
	v_cndmask_b32_e64 v61, v31, v61, s[52:53]                  // 000000004978: D100003D 00D27B1F
	v_cmp_lt_i32_e64 s[50:51], 26, v16                         // 000000004980: D0C10032 0002209A
	v_cmp_lt_i32_e64 s[52:53], 27, v16                         // 000000004988: D0C10034 0002209B
	v_cndmask_b32_e64 v62, v31, v62, s[50:51]                  // 000000004990: D100003E 00CA7D1F
	v_cndmask_b32_e64 v63, v31, v63, s[52:53]                  // 000000004998: D100003F 00D27F1F
	v_cmp_lt_i32_e64 s[50:51], 32, v16                         // 0000000049A0: D0C10032 000220A0
	v_cmp_lt_i32_e64 s[52:53], 33, v16                         // 0000000049A8: D0C10034 000220A1
	v_cndmask_b32_e64 v64, v31, v64, s[50:51]                  // 0000000049B0: D1000040 00CA811F
	v_cndmask_b32_e64 v65, v31, v65, s[52:53]                  // 0000000049B8: D1000041 00D2831F
	v_cmp_lt_i32_e64 s[50:51], 34, v16                         // 0000000049C0: D0C10032 000220A2
	v_cmp_lt_i32_e64 s[52:53], 35, v16                         // 0000000049C8: D0C10034 000220A3
	v_cndmask_b32_e64 v66, v31, v66, s[50:51]                  // 0000000049D0: D1000042 00CA851F
	v_cndmask_b32_e64 v67, v31, v67, s[52:53]                  // 0000000049D8: D1000043 00D2871F
	v_cmp_lt_i32_e64 s[50:51], 40, v16                         // 0000000049E0: D0C10032 000220A8
	v_cmp_lt_i32_e64 s[52:53], 41, v16                         // 0000000049E8: D0C10034 000220A9
	v_cndmask_b32_e64 v68, v31, v68, s[50:51]                  // 0000000049F0: D1000044 00CA891F
	v_cndmask_b32_e64 v69, v31, v69, s[52:53]                  // 0000000049F8: D1000045 00D28B1F
	v_cmp_lt_i32_e64 s[50:51], 42, v16                         // 000000004A00: D0C10032 000220AA
	v_cmp_lt_i32_e64 s[52:53], 43, v16                         // 000000004A08: D0C10034 000220AB
	v_cndmask_b32_e64 v70, v31, v70, s[50:51]                  // 000000004A10: D1000046 00CA8D1F
	v_cndmask_b32_e64 v71, v31, v71, s[52:53]                  // 000000004A18: D1000047 00D28F1F
	v_cmp_lt_i32_e64 s[50:51], 48, v16                         // 000000004A20: D0C10032 000220B0
	v_cmp_lt_i32_e64 s[52:53], 49, v16                         // 000000004A28: D0C10034 000220B1
	v_cndmask_b32_e64 v72, v31, v72, s[50:51]                  // 000000004A30: D1000048 00CA911F
	v_cndmask_b32_e64 v73, v31, v73, s[52:53]                  // 000000004A38: D1000049 00D2931F
	v_cmp_lt_i32_e64 s[50:51], 50, v16                         // 000000004A40: D0C10032 000220B2
	v_cmp_lt_i32_e64 s[52:53], 51, v16                         // 000000004A48: D0C10034 000220B3
	v_cndmask_b32_e64 v74, v31, v74, s[50:51]                  // 000000004A50: D100004A 00CA951F
	v_cndmask_b32_e64 v75, v31, v75, s[52:53]                  // 000000004A58: D100004B 00D2971F
	v_cmp_lt_i32_e64 s[50:51], 56, v16                         // 000000004A60: D0C10032 000220B8
	v_cmp_lt_i32_e64 s[52:53], 57, v16                         // 000000004A68: D0C10034 000220B9
	v_cndmask_b32_e64 v76, v31, v76, s[50:51]                  // 000000004A70: D100004C 00CA991F
	v_cndmask_b32_e64 v77, v31, v77, s[52:53]                  // 000000004A78: D100004D 00D29B1F
	v_cmp_lt_i32_e64 s[50:51], 58, v16                         // 000000004A80: D0C10032 000220BA
	v_cmp_lt_i32_e64 s[52:53], 59, v16                         // 000000004A88: D0C10034 000220BB
	v_cndmask_b32_e64 v78, v31, v78, s[50:51]                  // 000000004A90: D100004E 00CA9D1F
	v_cndmask_b32_e64 v79, v31, v79, s[52:53]                  // 000000004A98: D100004F 00D29F1F

0000000000004aa0 <label_03E8>:
	v_max3_f32 v25, v48, v49, v28                              // 000000004AA0: D1D30019 04726330
	v_max3_f32 v25, v50, v51, v25                              // 000000004AA8: D1D30019 04666732
	v_max3_f32 v25, v52, v53, v25                              // 000000004AB0: D1D30019 04666B34
	v_max3_f32 v25, v54, v55, v25                              // 000000004AB8: D1D30019 04666F36
	v_max3_f32 v25, v56, v57, v25                              // 000000004AC0: D1D30019 04667338
	v_max3_f32 v25, v58, v59, v25                              // 000000004AC8: D1D30019 0466773A
	v_max3_f32 v25, v60, v61, v25                              // 000000004AD0: D1D30019 04667B3C
	v_max3_f32 v25, v62, v63, v25                              // 000000004AD8: D1D30019 04667F3E
	v_max3_f32 v25, v64, v65, v25                              // 000000004AE0: D1D30019 04668340
	v_max3_f32 v25, v66, v67, v25                              // 000000004AE8: D1D30019 04668742
	v_max3_f32 v25, v68, v69, v25                              // 000000004AF0: D1D30019 04668B44
	v_max3_f32 v25, v70, v71, v25                              // 000000004AF8: D1D30019 04668F46
	v_max3_f32 v25, v72, v73, v25                              // 000000004B00: D1D30019 04669348
	v_max3_f32 v25, v74, v75, v25                              // 000000004B08: D1D30019 0466974A
	v_max3_f32 v25, v76, v77, v25                              // 000000004B10: D1D30019 04669B4C
	v_max3_f32 v25, v78, v79, v25                              // 000000004B18: D1D30019 04669F4E
	ds_permute_b32 v24, v32, v25                               // 000000004B20: D87C0000 18001920
	v_nop                                                      // 000000004B28: 7E000000
	s_nop 0                                                    // 000000004B2C: BF800000
	v_nop                                                      // 000000004B30: 7E000000
	s_waitcnt lgkmcnt(0)                                       // 000000004B34: BF8CC07F
	v_max_f32_e32 v25, v24, v25                                // 000000004B38: 16323318
	v_mov_b32_e32 v20, 0                                       // 000000004B3C: 7E280280
	v_mov_b32_e32 v28, v25                                     // 000000004B40: 7E380319
	v_mul_f32_e32 v27, s74, v25                                // 000000004B44: 0A36324A
	v_mul_f32_e32 v20, s74, v20                                // 000000004B48: 0A28284A
	v_exp_f32_e32 v20, v20                                     // 000000004B4C: 7E284114
	v_fma_f32 v48, v48, s74, -v27                              // 000000004B50: D1CB0030 846C9530
	v_fma_f32 v49, v49, s74, -v27                              // 000000004B58: D1CB0031 846C9531
	v_fma_f32 v50, v50, s74, -v27                              // 000000004B60: D1CB0032 846C9532
	v_fma_f32 v51, v51, s74, -v27                              // 000000004B68: D1CB0033 846C9533
	v_fma_f32 v52, v52, s74, -v27                              // 000000004B70: D1CB0034 846C9534
	v_fma_f32 v53, v53, s74, -v27                              // 000000004B78: D1CB0035 846C9535
	v_fma_f32 v54, v54, s74, -v27                              // 000000004B80: D1CB0036 846C9536
	v_fma_f32 v55, v55, s74, -v27                              // 000000004B88: D1CB0037 846C9537
	v_fma_f32 v56, v56, s74, -v27                              // 000000004B90: D1CB0038 846C9538
	v_fma_f32 v57, v57, s74, -v27                              // 000000004B98: D1CB0039 846C9539
	v_fma_f32 v58, v58, s74, -v27                              // 000000004BA0: D1CB003A 846C953A
	v_fma_f32 v59, v59, s74, -v27                              // 000000004BA8: D1CB003B 846C953B
	v_fma_f32 v60, v60, s74, -v27                              // 000000004BB0: D1CB003C 846C953C
	v_fma_f32 v61, v61, s74, -v27                              // 000000004BB8: D1CB003D 846C953D
	v_fma_f32 v62, v62, s74, -v27                              // 000000004BC0: D1CB003E 846C953E
	v_fma_f32 v63, v63, s74, -v27                              // 000000004BC8: D1CB003F 846C953F
	v_fma_f32 v64, v64, s74, -v27                              // 000000004BD0: D1CB0040 846C9540
	v_fma_f32 v65, v65, s74, -v27                              // 000000004BD8: D1CB0041 846C9541
	v_fma_f32 v66, v66, s74, -v27                              // 000000004BE0: D1CB0042 846C9542
	v_fma_f32 v67, v67, s74, -v27                              // 000000004BE8: D1CB0043 846C9543
	v_fma_f32 v68, v68, s74, -v27                              // 000000004BF0: D1CB0044 846C9544
	v_fma_f32 v69, v69, s74, -v27                              // 000000004BF8: D1CB0045 846C9545
	v_fma_f32 v70, v70, s74, -v27                              // 000000004C00: D1CB0046 846C9546
	v_fma_f32 v71, v71, s74, -v27                              // 000000004C08: D1CB0047 846C9547
	v_fma_f32 v72, v72, s74, -v27                              // 000000004C10: D1CB0048 846C9548
	v_fma_f32 v73, v73, s74, -v27                              // 000000004C18: D1CB0049 846C9549
	v_fma_f32 v74, v74, s74, -v27                              // 000000004C20: D1CB004A 846C954A
	v_fma_f32 v75, v75, s74, -v27                              // 000000004C28: D1CB004B 846C954B
	v_fma_f32 v76, v76, s74, -v27                              // 000000004C30: D1CB004C 846C954C
	v_fma_f32 v77, v77, s74, -v27                              // 000000004C38: D1CB004D 846C954D
	v_fma_f32 v78, v78, s74, -v27                              // 000000004C40: D1CB004E 846C954E
	v_fma_f32 v79, v79, s74, -v27                              // 000000004C48: D1CB004F 846C954F
	v_exp_f32_e32 v48, v48                                     // 000000004C50: 7E604130
	v_exp_f32_e32 v49, v49                                     // 000000004C54: 7E624131
	v_exp_f32_e32 v50, v50                                     // 000000004C58: 7E644132
	v_exp_f32_e32 v51, v51                                     // 000000004C5C: 7E664133
	v_exp_f32_e32 v52, v52                                     // 000000004C60: 7E684134
	v_exp_f32_e32 v53, v53                                     // 000000004C64: 7E6A4135
	v_exp_f32_e32 v54, v54                                     // 000000004C68: 7E6C4136
	v_exp_f32_e32 v55, v55                                     // 000000004C6C: 7E6E4137
	s_addk_i32 s63, 0x40                                       // 000000004C70: B73F0040
	s_add_i32 s72, s72, s73                                    // 000000004C74: 81484948
	s_mov_b32 m0, s54                                          // 000000004C78: BEFC0036
	buffer_load_dword v4, s[12:15], s57 offen lds              // 000000004C7C: E0511000 39030004
	s_add_u32 m0, 0x880, m0                                    // 000000004C84: 807C7CFF 00000880
	buffer_load_dword v5, s[12:15], s57 offen lds              // 000000004C8C: E0511000 39030005
	s_add_u32 m0, 0x880, m0                                    // 000000004C94: 807C7CFF 00000880
	buffer_load_dword v6, s[12:15], s57 offen lds              // 000000004C9C: E0511000 39030006
	s_add_u32 m0, 0x880, m0                                    // 000000004CA4: 807C7CFF 00000880
	buffer_load_dword v7, s[12:15], s57 offen lds              // 000000004CAC: E0511000 39030007
	s_add_u32 m0, 0x880, m0                                    // 000000004CB4: 807C7CFF 00000880
	s_add_i32 s57, s64, s57                                    // 000000004CBC: 81393940
	s_waitcnt vmcnt(8)                                         // 000000004CC0: BF8C0F78
	s_barrier                                                  // 000000004CC4: BF8A0000
	s_cmp_lt_i32 s63, s62                                      // 000000004CC8: BF043E3F
	s_cbranch_scc0 label_1082                                  // 000000004CCC: BF840C0E
	s_cmp_lt_i32 s5, 4                                         // 000000004CD0: BF048405
	s_cbranch_scc0 label_0A8A                                  // 000000004CD4: BF840614
	buffer_load_dword v228, v8, s[16:19], s32 offen            // 000000004CD8: E0501000 2004E408
	buffer_load_dword v229, v9, s[16:19], s32 offen            // 000000004CE0: E0501000 2004E509
	buffer_load_dword v230, v10, s[16:19], s32 offen           // 000000004CE8: E0501000 2004E60A
	buffer_load_dword v231, v11, s[16:19], s32 offen           // 000000004CF0: E0501000 2004E70B
	s_add_i32 s32, s65, s32                                    // 000000004CF8: 81202041
	ds_read_b128 v[192:195], v12 offset:8704                   // 000000004CFC: D9FE2200 C000000C
	ds_read_b128 v[196:199], v12 offset:8736                   // 000000004D04: D9FE2220 C400000C
	ds_read_b128 v[200:203], v12 offset:8768                   // 000000004D0C: D9FE2240 C800000C
	ds_read_b128 v[204:207], v12 offset:8800                   // 000000004D14: D9FE2260 CC00000C
	ds_read_b128 v[208:211], v12 offset:13056                  // 000000004D1C: D9FE3300 D000000C
	ds_read_b128 v[212:215], v12 offset:13088                  // 000000004D24: D9FE3320 D400000C
	ds_read_b128 v[216:219], v12 offset:13120                  // 000000004D2C: D9FE3340 D800000C
	ds_read_b128 v[220:223], v12 offset:13152                  // 000000004D34: D9FE3360 DC00000C
	s_setprio 0                                                // 000000004D3C: BF8F0000
	s_barrier                                                  // 000000004D40: BF8A0000

0000000000004d44 <label_0491>:
	s_barrier                                                  // 000000004D44: BF8A0000
	s_waitcnt lgkmcnt(0)                                       // 000000004D48: BF8CC07F
	v_mfma_f32_32x32x16_fp8_fp8 v[80:95], v[192:193], v[176:177], 0// 000000004D4C: D3F70050 020361C0
	v_exp_f32_e32 v56, v56                                     // 000000004D54: 7E704138
	v_exp_f32_e32 v57, v57                                     // 000000004D58: 7E724139
	v_mfma_f32_32x32x16_fp8_fp8 v[80:95], v[194:195], v[178:179], v[80:95]// 000000004D5C: D3F70050 054365C2
	v_exp_f32_e32 v58, v58                                     // 000000004D64: 7E74413A
	v_exp_f32_e32 v59, v59                                     // 000000004D68: 7E76413B
	v_mfma_f32_32x32x16_fp8_fp8 v[80:95], v[196:197], v[180:181], v[80:95]// 000000004D6C: D3F70050 054369C4
	v_exp_f32_e32 v60, v60                                     // 000000004D74: 7E78413C
	v_exp_f32_e32 v61, v61                                     // 000000004D78: 7E7A413D
	v_mfma_f32_32x32x16_fp8_fp8 v[80:95], v[198:199], v[182:183], v[80:95]// 000000004D7C: D3F70050 05436DC6
	v_exp_f32_e32 v62, v62                                     // 000000004D84: 7E7C413E
	v_exp_f32_e32 v63, v63                                     // 000000004D88: 7E7E413F
	v_mfma_f32_32x32x16_fp8_fp8 v[80:95], v[200:201], v[184:185], v[80:95]// 000000004D8C: D3F70050 054371C8
	v_exp_f32_e32 v64, v64                                     // 000000004D94: 7E804140
	v_exp_f32_e32 v65, v65                                     // 000000004D98: 7E824141
	v_mfma_f32_32x32x16_fp8_fp8 v[80:95], v[202:203], v[186:187], v[80:95]// 000000004D9C: D3F70050 054375CA
	v_exp_f32_e32 v66, v66                                     // 000000004DA4: 7E844142
	v_exp_f32_e32 v67, v67                                     // 000000004DA8: 7E864143
	v_mfma_f32_32x32x16_fp8_fp8 v[80:95], v[204:205], v[188:189], v[80:95]// 000000004DAC: D3F70050 054379CC
	v_exp_f32_e32 v68, v68                                     // 000000004DB4: 7E884144
	v_exp_f32_e32 v69, v69                                     // 000000004DB8: 7E8A4145
	v_mfma_f32_32x32x16_fp8_fp8 v[80:95], v[206:207], v[190:191], v[80:95]// 000000004DBC: D3F70050 05437DCE
	v_exp_f32_e32 v70, v70                                     // 000000004DC4: 7E8C4146
	v_exp_f32_e32 v71, v71                                     // 000000004DC8: 7E8E4147
	v_mfma_f32_32x32x16_fp8_fp8 v[96:111], v[208:209], v[176:177], 0// 000000004DCC: D3F70060 020361D0
	v_exp_f32_e32 v72, v72                                     // 000000004DD4: 7E904148
	v_exp_f32_e32 v73, v73                                     // 000000004DD8: 7E924149
	v_mfma_f32_32x32x16_fp8_fp8 v[96:111], v[210:211], v[178:179], v[96:111]// 000000004DDC: D3F70060 058365D2
	v_exp_f32_e32 v74, v74                                     // 000000004DE4: 7E94414A
	v_exp_f32_e32 v75, v75                                     // 000000004DE8: 7E96414B
	v_mfma_f32_32x32x16_fp8_fp8 v[96:111], v[212:213], v[180:181], v[96:111]// 000000004DEC: D3F70060 058369D4
	v_exp_f32_e32 v76, v76                                     // 000000004DF4: 7E98414C
	v_exp_f32_e32 v77, v77                                     // 000000004DF8: 7E9A414D
	v_mfma_f32_32x32x16_fp8_fp8 v[96:111], v[214:215], v[182:183], v[96:111]// 000000004DFC: D3F70060 05836DD6
	s_waitcnt vmcnt(8)                                         // 000000004E04: BF8C0F78
	s_barrier                                                  // 000000004E08: BF8A0000
	v_mfma_f32_32x32x16_fp8_fp8 v[96:111], v[216:217], v[184:185], v[96:111]// 000000004E0C: D3F70060 058371D8
	v_exp_f32_e32 v78, v78                                     // 000000004E14: 7E9C414E
	v_exp_f32_e32 v79, v79                                     // 000000004E18: 7E9E414F
	v_mfma_f32_32x32x16_fp8_fp8 v[96:111], v[218:219], v[186:187], v[96:111]// 000000004E1C: D3F70060 058375DA
	v_mul_f32_e32 v22, v20, v22                                // 000000004E24: 0A2C2D14
	v_add_f32_e32 v38, v49, v48                                // 000000004E28: 024C6131
	v_add_f32_e32 v38, v50, v38                                // 000000004E2C: 024C4D32
	v_add_f32_e32 v38, v51, v38                                // 000000004E30: 024C4D33
	v_mfma_f32_32x32x16_fp8_fp8 v[96:111], v[220:221], v[188:189], v[96:111]// 000000004E34: D3F70060 058379DC
	v_add_f32_e32 v38, v52, v38                                // 000000004E3C: 024C4D34
	v_add_f32_e32 v38, v53, v38                                // 000000004E40: 024C4D35
	v_add_f32_e32 v38, v54, v38                                // 000000004E44: 024C4D36
	v_add_f32_e32 v38, v55, v38                                // 000000004E48: 024C4D37
	v_add_f32_e32 v38, v56, v38                                // 000000004E4C: 024C4D38
	v_add_f32_e32 v38, v57, v38                                // 000000004E50: 024C4D39
	v_add_f32_e32 v38, v58, v38                                // 000000004E54: 024C4D3A
	v_mfma_f32_32x32x16_fp8_fp8 v[96:111], v[222:223], v[190:191], v[96:111]// 000000004E58: D3F70060 05837DDE
	v_perm_b32 v16, v225, v224, s69                            // 000000004E60: D1ED0010 0117C1E1
	v_perm_b32 v17, v225, v224, s70                            // 000000004E68: D1ED0011 011BC1E1
	v_perm_b32 v18, v227, v226, s69                            // 000000004E70: D1ED0012 0117C5E3
	v_perm_b32 v19, v227, v226, s70                            // 000000004E78: D1ED0013 011BC5E3
	v_perm_b32 v232, v18, v16, s68                             // 000000004E80: D1ED00E8 01122112
	v_perm_b32 v233, v18, v16, s67                             // 000000004E88: D1ED00E9 010E2112
	v_perm_b32 v234, v19, v17, s68                             // 000000004E90: D1ED00EA 01122313
	v_perm_b32 v235, v19, v17, s67                             // 000000004E98: D1ED00EB 010E2313
	v_add_f32_e32 v38, v59, v38                                // 000000004EA0: 024C4D3B
	v_add_f32_e32 v38, v60, v38                                // 000000004EA4: 024C4D3C
	v_add_f32_e32 v38, v61, v38                                // 000000004EA8: 024C4D3D
	v_add_f32_e32 v38, v62, v38                                // 000000004EAC: 024C4D3E
	v_add_f32_e32 v38, v63, v38                                // 000000004EB0: 024C4D3F
	v_add_f32_e32 v38, v64, v38                                // 000000004EB4: 024C4D40
	v_add_f32_e32 v38, v65, v38                                // 000000004EB8: 024C4D41
	v_add_f32_e32 v38, v66, v38                                // 000000004EBC: 024C4D42
	v_add_f32_e32 v38, v67, v38                                // 000000004EC0: 024C4D43
	v_add_f32_e32 v38, v68, v38                                // 000000004EC4: 024C4D44
	v_add_f32_e32 v38, v69, v38                                // 000000004EC8: 024C4D45
	v_add_f32_e32 v38, v70, v38                                // 000000004ECC: 024C4D46
	v_add_f32_e32 v38, v71, v38                                // 000000004ED0: 024C4D47
	v_add_f32_e32 v38, v72, v38                                // 000000004ED4: 024C4D48
	v_add_f32_e32 v38, v73, v38                                // 000000004ED8: 024C4D49
	v_add_f32_e32 v38, v74, v38                                // 000000004EDC: 024C4D4A
	v_add_f32_e32 v38, v75, v38                                // 000000004EE0: 024C4D4B
	v_add_f32_e32 v38, v76, v38                                // 000000004EE4: 024C4D4C
	v_add_f32_e32 v38, v77, v38                                // 000000004EE8: 024C4D4D
	v_add_f32_e32 v38, v78, v38                                // 000000004EEC: 024C4D4E
	v_add_f32_e32 v38, v79, v38                                // 000000004EF0: 024C4D4F
	v_add_f32_e32 v22, v38, v22                                // 000000004EF4: 022C2D26
	v_cvt_pk_fp8_f32 v48, v48, v49                             // 000000004EF8: D2A20030 00026330
	v_cvt_pk_fp8_f32 v48, v50, v51 op_sel:[0,0,1]              // 000000004F00: D2A24030 00026732
	v_cvt_pk_fp8_f32 v49, v52, v53                             // 000000004F08: D2A20031 00026B34
	v_cvt_pk_fp8_f32 v49, v54, v55 op_sel:[0,0,1]              // 000000004F10: D2A24031 00026F36
	v_cvt_pk_fp8_f32 v50, v56, v57                             // 000000004F18: D2A20032 00027338
	v_cvt_pk_fp8_f32 v50, v58, v59 op_sel:[0,0,1]              // 000000004F20: D2A24032 0002773A
	v_cvt_pk_fp8_f32 v51, v60, v61                             // 000000004F28: D2A20033 00027B3C
	v_cvt_pk_fp8_f32 v51, v62, v63 op_sel:[0,0,1]              // 000000004F30: D2A24033 00027F3E
	v_cvt_pk_fp8_f32 v52, v64, v65                             // 000000004F38: D2A20034 00028340
	v_cvt_pk_fp8_f32 v52, v66, v67 op_sel:[0,0,1]              // 000000004F40: D2A24034 00028742
	v_cvt_pk_fp8_f32 v53, v68, v69                             // 000000004F48: D2A20035 00028B44
	v_cvt_pk_fp8_f32 v53, v70, v71 op_sel:[0,0,1]              // 000000004F50: D2A24035 00028F46
	v_cvt_pk_fp8_f32 v54, v72, v73                             // 000000004F58: D2A20036 00029348
	v_cvt_pk_fp8_f32 v54, v74, v75 op_sel:[0,0,1]              // 000000004F60: D2A24036 0002974A
	v_cvt_pk_fp8_f32 v55, v76, v77                             // 000000004F68: D2A20037 00029B4C
	v_cvt_pk_fp8_f32 v55, v78, v79 op_sel:[0,0,1]              // 000000004F70: D2A24037 00029F4E
	s_nop 0                                                    // 000000004F78: BF800000
	v_mov_b32_e32 v21, v20                                     // 000000004F7C: 7E2A0314
	v_mul_f32_e32 v112, v20, v112                              // 000000004F80: 0AE0E114
	v_mul_f32_e32 v113, v20, v113                              // 000000004F84: 0AE2E314
	v_pk_mul_f32 v[114:115], v[20:21], v[114:115]              // 000000004F88: D3B14072 1802E514
	v_pk_mul_f32 v[116:117], v[20:21], v[116:117]              // 000000004F90: D3B14074 1802E914
	v_pk_mul_f32 v[118:119], v[20:21], v[118:119]              // 000000004F98: D3B14076 1802ED14
	v_pk_mul_f32 v[120:121], v[20:21], v[120:121]              // 000000004FA0: D3B14078 1802F114
	v_pk_mul_f32 v[122:123], v[20:21], v[122:123]              // 000000004FA8: D3B1407A 1802F514
	v_pk_mul_f32 v[124:125], v[20:21], v[124:125]              // 000000004FB0: D3B1407C 1802F914
	v_pk_mul_f32 v[126:127], v[20:21], v[126:127]              // 000000004FB8: D3B1407E 1802FD14
	v_pk_mul_f32 v[128:129], v[20:21], v[128:129]              // 000000004FC0: D3B14080 18030114
	v_pk_mul_f32 v[130:131], v[20:21], v[130:131]              // 000000004FC8: D3B14082 18030514
	v_pk_mul_f32 v[132:133], v[20:21], v[132:133]              // 000000004FD0: D3B14084 18030914
	v_pk_mul_f32 v[134:135], v[20:21], v[134:135]              // 000000004FD8: D3B14086 18030D14
	v_pk_mul_f32 v[136:137], v[20:21], v[136:137]              // 000000004FE0: D3B14088 18031114
	v_pk_mul_f32 v[138:139], v[20:21], v[138:139]              // 000000004FE8: D3B1408A 18031514
	v_pk_mul_f32 v[140:141], v[20:21], v[140:141]              // 000000004FF0: D3B1408C 18031914
	v_pk_mul_f32 v[142:143], v[20:21], v[142:143]              // 000000004FF8: D3B1408E 18031D14
	v_pk_mul_f32 v[144:145], v[20:21], v[144:145]              // 000000005000: D3B14090 18032114
	v_pk_mul_f32 v[146:147], v[20:21], v[146:147]              // 000000005008: D3B14092 18032514
	v_pk_mul_f32 v[148:149], v[20:21], v[148:149]              // 000000005010: D3B14094 18032914
	v_pk_mul_f32 v[150:151], v[20:21], v[150:151]              // 000000005018: D3B14096 18032D14
	v_pk_mul_f32 v[152:153], v[20:21], v[152:153]              // 000000005020: D3B14098 18033114
	v_pk_mul_f32 v[154:155], v[20:21], v[154:155]              // 000000005028: D3B1409A 18033514
	v_pk_mul_f32 v[156:157], v[20:21], v[156:157]              // 000000005030: D3B1409C 18033914
	v_pk_mul_f32 v[158:159], v[20:21], v[158:159]              // 000000005038: D3B1409E 18033D14
	v_pk_mul_f32 v[160:161], v[20:21], v[160:161]              // 000000005040: D3B140A0 18034114
	v_pk_mul_f32 v[162:163], v[20:21], v[162:163]              // 000000005048: D3B140A2 18034514
	v_pk_mul_f32 v[164:165], v[20:21], v[164:165]              // 000000005050: D3B140A4 18034914
	v_pk_mul_f32 v[166:167], v[20:21], v[166:167]              // 000000005058: D3B140A6 18034D14
	v_pk_mul_f32 v[168:169], v[20:21], v[168:169]              // 000000005060: D3B140A8 18035114
	v_pk_mul_f32 v[170:171], v[20:21], v[170:171]              // 000000005068: D3B140AA 18035514
	v_pk_mul_f32 v[172:173], v[20:21], v[172:173]              // 000000005070: D3B140AC 18035914
	v_pk_mul_f32 v[174:175], v[20:21], v[174:175]              // 000000005078: D3B140AE 18035D14
	s_barrier                                                  // 000000005080: BF8A0000
	ds_write_b32 v14, v232 offset:17408                        // 000000005084: D81A4400 0000E80E
	ds_write_b32 v14, v233 offset:19488                        // 00000000508C: D81A4C20 0000E90E
	ds_write_b32 v14, v234 offset:21568                        // 000000005094: D81A5440 0000EA0E
	ds_write_b32 v14, v235 offset:23648                        // 00000000509C: D81A5C60 0000EB0E
	s_waitcnt lgkmcnt(0)                                       // 0000000050A4: BF8CC07F
	s_barrier                                                  // 0000000050A8: BF8A0000
	s_mov_b32 m0, s55                                          // 0000000050AC: BEFC0037
	ds_read_b32 v192, v13 offset:17408                         // 0000000050B0: D86C4400 C000000D
	ds_read_b32 v193, v13 offset:17664                         // 0000000050B8: D86C4500 C100000D
	ds_read_b32 v194, v13 offset:17920                         // 0000000050C0: D86C4600 C200000D
	ds_read_b32 v195, v13 offset:18176                         // 0000000050C8: D86C4700 C300000D
	buffer_load_dword v4, s[12:15], s57 offen lds              // 0000000050D0: E0511000 39030004
	s_add_u32 m0, 0x880, m0                                    // 0000000050D8: 807C7CFF 00000880
	ds_read_b32 v196, v13 offset:18432                         // 0000000050E0: D86C4800 C400000D
	ds_read_b32 v197, v13 offset:18688                         // 0000000050E8: D86C4900 C500000D
	ds_read_b32 v198, v13 offset:18944                         // 0000000050F0: D86C4A00 C600000D
	ds_read_b32 v199, v13 offset:19200                         // 0000000050F8: D86C4B00 C700000D
	buffer_load_dword v5, s[12:15], s57 offen lds              // 000000005100: E0511000 39030005
	s_add_u32 m0, 0x880, m0                                    // 000000005108: 807C7CFF 00000880
	ds_read_b32 v200, v13 offset:17440                         // 000000005110: D86C4420 C800000D
	ds_read_b32 v201, v13 offset:17696                         // 000000005118: D86C4520 C900000D
	ds_read_b32 v202, v13 offset:17952                         // 000000005120: D86C4620 CA00000D
	ds_read_b32 v203, v13 offset:18208                         // 000000005128: D86C4720 CB00000D
	buffer_load_dword v6, s[12:15], s57 offen lds              // 000000005130: E0511000 39030006
	s_add_u32 m0, 0x880, m0                                    // 000000005138: 807C7CFF 00000880
	ds_read_b32 v204, v13 offset:18464                         // 000000005140: D86C4820 CC00000D
	ds_read_b32 v205, v13 offset:18720                         // 000000005148: D86C4920 CD00000D
	ds_read_b32 v206, v13 offset:18976                         // 000000005150: D86C4A20 CE00000D
	ds_read_b32 v207, v13 offset:19232                         // 000000005158: D86C4B20 CF00000D
	buffer_load_dword v7, s[12:15], s57 offen lds              // 000000005160: E0511000 39030007
	s_add_u32 m0, 0x880, m0                                    // 000000005168: 807C7CFF 00000880
	ds_read_b32 v208, v13 offset:17472                         // 000000005170: D86C4440 D000000D
	ds_read_b32 v209, v13 offset:17728                         // 000000005178: D86C4540 D100000D
	ds_read_b32 v210, v13 offset:17984                         // 000000005180: D86C4640 D200000D
	ds_read_b32 v211, v13 offset:18240                         // 000000005188: D86C4740 D300000D
	ds_read_b32 v212, v13 offset:18496                         // 000000005190: D86C4840 D400000D
	ds_read_b32 v213, v13 offset:18752                         // 000000005198: D86C4940 D500000D
	ds_read_b32 v214, v13 offset:19008                         // 0000000051A0: D86C4A40 D600000D
	ds_read_b32 v215, v13 offset:19264                         // 0000000051A8: D86C4B40 D700000D
	ds_read_b32 v216, v13 offset:17504                         // 0000000051B0: D86C4460 D800000D
	ds_read_b32 v217, v13 offset:17760                         // 0000000051B8: D86C4560 D900000D
	ds_read_b32 v218, v13 offset:18016                         // 0000000051C0: D86C4660 DA00000D
	ds_read_b32 v219, v13 offset:18272                         // 0000000051C8: D86C4760 DB00000D
	ds_read_b32 v220, v13 offset:18528                         // 0000000051D0: D86C4860 DC00000D
	ds_read_b32 v221, v13 offset:18784                         // 0000000051D8: D86C4960 DD00000D
	ds_read_b32 v222, v13 offset:19040                         // 0000000051E0: D86C4A60 DE00000D
	ds_read_b32 v223, v13 offset:19296                         // 0000000051E8: D86C4B60 DF00000D
	s_add_i32 s57, s64, s57                                    // 0000000051F0: 81393940
	s_add_u32 s34, 0x100, s63                                  // 0000000051F4: 80223FFF 00000100
	s_cmp_lt_u32 s34, s62                                      // 0000000051FC: BF0A3E22
	s_cselect_b32 s64, s64, 0                                  // 000000005200: 85408040
	s_nop 0                                                    // 000000005204: BF800000
	s_cmp_lt_i32 s72, s71                                      // 000000005208: BF044748
	s_cbranch_scc1 label_06D0                                  // 00000000520C: BF85010C
	s_sub_i32 s34, s71, s72                                    // 000000005210: 81A24847
	s_sub_i32 s35, s7, s29                                     // 000000005214: 81A31D07
	s_and_b32 s35, s35, 63                                     // 000000005218: 8623BF23
	s_add_i32 s34, s34, s35                                    // 00000000521C: 81222322
	v_add_i32 v16, v29, s34                                    // 000000005220: D29C0010 0000451D
	v_cmp_lt_i32_e64 s[50:51], v16, 0                          // 000000005228: D0C10032 00010110
	v_cmp_lt_i32_e64 s[52:53], v16, 1                          // 000000005230: D0C10034 00010310
	v_cndmask_b32_e64 v80, v80, v31, s[50:51]                  // 000000005238: D1000050 00CA3F50
	v_cndmask_b32_e64 v81, v81, v31, s[52:53]                  // 000000005240: D1000051 00D23F51
	v_cmp_lt_i32_e64 s[50:51], v16, 2                          // 000000005248: D0C10032 00010510
	v_cmp_lt_i32_e64 s[52:53], v16, 3                          // 000000005250: D0C10034 00010710
	v_cndmask_b32_e64 v82, v82, v31, s[50:51]                  // 000000005258: D1000052 00CA3F52
	v_cndmask_b32_e64 v83, v83, v31, s[52:53]                  // 000000005260: D1000053 00D23F53
	v_cmp_lt_i32_e64 s[50:51], v16, 8                          // 000000005268: D0C10032 00011110
	v_cmp_lt_i32_e64 s[52:53], v16, 9                          // 000000005270: D0C10034 00011310
	v_cndmask_b32_e64 v84, v84, v31, s[50:51]                  // 000000005278: D1000054 00CA3F54
	v_cndmask_b32_e64 v85, v85, v31, s[52:53]                  // 000000005280: D1000055 00D23F55
	v_cmp_lt_i32_e64 s[50:51], v16, 10                         // 000000005288: D0C10032 00011510
	v_cmp_lt_i32_e64 s[52:53], v16, 11                         // 000000005290: D0C10034 00011710
	v_cndmask_b32_e64 v86, v86, v31, s[50:51]                  // 000000005298: D1000056 00CA3F56
	v_cndmask_b32_e64 v87, v87, v31, s[52:53]                  // 0000000052A0: D1000057 00D23F57
	v_cmp_lt_i32_e64 s[50:51], v16, 16                         // 0000000052A8: D0C10032 00012110
	v_cmp_lt_i32_e64 s[52:53], v16, 17                         // 0000000052B0: D0C10034 00012310
	v_cndmask_b32_e64 v88, v88, v31, s[50:51]                  // 0000000052B8: D1000058 00CA3F58
	v_cndmask_b32_e64 v89, v89, v31, s[52:53]                  // 0000000052C0: D1000059 00D23F59
	v_cmp_lt_i32_e64 s[50:51], v16, 18                         // 0000000052C8: D0C10032 00012510
	v_cmp_lt_i32_e64 s[52:53], v16, 19                         // 0000000052D0: D0C10034 00012710
	v_cndmask_b32_e64 v90, v90, v31, s[50:51]                  // 0000000052D8: D100005A 00CA3F5A
	v_cndmask_b32_e64 v91, v91, v31, s[52:53]                  // 0000000052E0: D100005B 00D23F5B
	v_cmp_lt_i32_e64 s[50:51], v16, 24                         // 0000000052E8: D0C10032 00013110
	v_cmp_lt_i32_e64 s[52:53], v16, 25                         // 0000000052F0: D0C10034 00013310
	v_cndmask_b32_e64 v92, v92, v31, s[50:51]                  // 0000000052F8: D100005C 00CA3F5C
	v_cndmask_b32_e64 v93, v93, v31, s[52:53]                  // 000000005300: D100005D 00D23F5D
	v_cmp_lt_i32_e64 s[50:51], v16, 26                         // 000000005308: D0C10032 00013510
	v_cmp_lt_i32_e64 s[52:53], v16, 27                         // 000000005310: D0C10034 00013710
	v_cndmask_b32_e64 v94, v94, v31, s[50:51]                  // 000000005318: D100005E 00CA3F5E
	v_cndmask_b32_e64 v95, v95, v31, s[52:53]                  // 000000005320: D100005F 00D23F5F
	v_cmp_lt_i32_e64 s[50:51], v16, 32                         // 000000005328: D0C10032 00014110
	v_cmp_lt_i32_e64 s[52:53], v16, 33                         // 000000005330: D0C10034 00014310
	v_cndmask_b32_e64 v96, v96, v31, s[50:51]                  // 000000005338: D1000060 00CA3F60
	v_cndmask_b32_e64 v97, v97, v31, s[52:53]                  // 000000005340: D1000061 00D23F61
	v_cmp_lt_i32_e64 s[50:51], v16, 34                         // 000000005348: D0C10032 00014510
	v_cmp_lt_i32_e64 s[52:53], v16, 35                         // 000000005350: D0C10034 00014710
	v_cndmask_b32_e64 v98, v98, v31, s[50:51]                  // 000000005358: D1000062 00CA3F62
	v_cndmask_b32_e64 v99, v99, v31, s[52:53]                  // 000000005360: D1000063 00D23F63
	v_cmp_lt_i32_e64 s[50:51], v16, 40                         // 000000005368: D0C10032 00015110
	v_cmp_lt_i32_e64 s[52:53], v16, 41                         // 000000005370: D0C10034 00015310
	v_cndmask_b32_e64 v100, v100, v31, s[50:51]                // 000000005378: D1000064 00CA3F64
	v_cndmask_b32_e64 v101, v101, v31, s[52:53]                // 000000005380: D1000065 00D23F65
	v_cmp_lt_i32_e64 s[50:51], v16, 42                         // 000000005388: D0C10032 00015510
	v_cmp_lt_i32_e64 s[52:53], v16, 43                         // 000000005390: D0C10034 00015710
	v_cndmask_b32_e64 v102, v102, v31, s[50:51]                // 000000005398: D1000066 00CA3F66
	v_cndmask_b32_e64 v103, v103, v31, s[52:53]                // 0000000053A0: D1000067 00D23F67
	v_cmp_lt_i32_e64 s[50:51], v16, 48                         // 0000000053A8: D0C10032 00016110
	v_cmp_lt_i32_e64 s[52:53], v16, 49                         // 0000000053B0: D0C10034 00016310
	v_cndmask_b32_e64 v104, v104, v31, s[50:51]                // 0000000053B8: D1000068 00CA3F68
	v_cndmask_b32_e64 v105, v105, v31, s[52:53]                // 0000000053C0: D1000069 00D23F69
	v_cmp_lt_i32_e64 s[50:51], v16, 50                         // 0000000053C8: D0C10032 00016510
	v_cmp_lt_i32_e64 s[52:53], v16, 51                         // 0000000053D0: D0C10034 00016710
	v_cndmask_b32_e64 v106, v106, v31, s[50:51]                // 0000000053D8: D100006A 00CA3F6A
	v_cndmask_b32_e64 v107, v107, v31, s[52:53]                // 0000000053E0: D100006B 00D23F6B
	v_cmp_lt_i32_e64 s[50:51], v16, 56                         // 0000000053E8: D0C10032 00017110
	v_cmp_lt_i32_e64 s[52:53], v16, 57                         // 0000000053F0: D0C10034 00017310
	v_cndmask_b32_e64 v108, v108, v31, s[50:51]                // 0000000053F8: D100006C 00CA3F6C
	v_cndmask_b32_e64 v109, v109, v31, s[52:53]                // 000000005400: D100006D 00D23F6D
	v_cmp_lt_i32_e64 s[50:51], v16, 58                         // 000000005408: D0C10032 00017510
	v_cmp_lt_i32_e64 s[52:53], v16, 59                         // 000000005410: D0C10034 00017710
	v_cndmask_b32_e64 v110, v110, v31, s[50:51]                // 000000005418: D100006E 00CA3F6E
	v_cndmask_b32_e64 v111, v111, v31, s[52:53]                // 000000005420: D100006F 00D23F6F
	s_nop 0                                                    // 000000005428: BF800000
	s_cmp_lt_i32 s72, s76                                      // 00000000542C: BF044C48
	s_cbranch_scc1 label_06D0                                  // 000000005430: BF850083
	s_sub_i32 s34, s7, s72                                     // 000000005434: 81A24807
	v_sub_i32 v16, s34, v30                                    // 000000005438: D29D0010 00023C22
	v_cmp_lt_i32_e64 s[50:51], 0, v16                          // 000000005440: D0C10032 00022080
	v_cmp_lt_i32_e64 s[52:53], 1, v16                          // 000000005448: D0C10034 00022081
	v_cndmask_b32_e64 v80, v31, v80, s[50:51]                  // 000000005450: D1000050 00CAA11F
	v_cndmask_b32_e64 v81, v31, v81, s[52:53]                  // 000000005458: D1000051 00D2A31F
	v_cmp_lt_i32_e64 s[50:51], 2, v16                          // 000000005460: D0C10032 00022082
	v_cmp_lt_i32_e64 s[52:53], 3, v16                          // 000000005468: D0C10034 00022083
	v_cndmask_b32_e64 v82, v31, v82, s[50:51]                  // 000000005470: D1000052 00CAA51F
	v_cndmask_b32_e64 v83, v31, v83, s[52:53]                  // 000000005478: D1000053 00D2A71F
	v_cmp_lt_i32_e64 s[50:51], 8, v16                          // 000000005480: D0C10032 00022088
	v_cmp_lt_i32_e64 s[52:53], 9, v16                          // 000000005488: D0C10034 00022089
	v_cndmask_b32_e64 v84, v31, v84, s[50:51]                  // 000000005490: D1000054 00CAA91F
	v_cndmask_b32_e64 v85, v31, v85, s[52:53]                  // 000000005498: D1000055 00D2AB1F
	v_cmp_lt_i32_e64 s[50:51], 10, v16                         // 0000000054A0: D0C10032 0002208A
	v_cmp_lt_i32_e64 s[52:53], 11, v16                         // 0000000054A8: D0C10034 0002208B
	v_cndmask_b32_e64 v86, v31, v86, s[50:51]                  // 0000000054B0: D1000056 00CAAD1F
	v_cndmask_b32_e64 v87, v31, v87, s[52:53]                  // 0000000054B8: D1000057 00D2AF1F
	v_cmp_lt_i32_e64 s[50:51], 16, v16                         // 0000000054C0: D0C10032 00022090
	v_cmp_lt_i32_e64 s[52:53], 17, v16                         // 0000000054C8: D0C10034 00022091
	v_cndmask_b32_e64 v88, v31, v88, s[50:51]                  // 0000000054D0: D1000058 00CAB11F
	v_cndmask_b32_e64 v89, v31, v89, s[52:53]                  // 0000000054D8: D1000059 00D2B31F
	v_cmp_lt_i32_e64 s[50:51], 18, v16                         // 0000000054E0: D0C10032 00022092
	v_cmp_lt_i32_e64 s[52:53], 19, v16                         // 0000000054E8: D0C10034 00022093
	v_cndmask_b32_e64 v90, v31, v90, s[50:51]                  // 0000000054F0: D100005A 00CAB51F
	v_cndmask_b32_e64 v91, v31, v91, s[52:53]                  // 0000000054F8: D100005B 00D2B71F
	v_cmp_lt_i32_e64 s[50:51], 24, v16                         // 000000005500: D0C10032 00022098
	v_cmp_lt_i32_e64 s[52:53], 25, v16                         // 000000005508: D0C10034 00022099
	v_cndmask_b32_e64 v92, v31, v92, s[50:51]                  // 000000005510: D100005C 00CAB91F
	v_cndmask_b32_e64 v93, v31, v93, s[52:53]                  // 000000005518: D100005D 00D2BB1F
	v_cmp_lt_i32_e64 s[50:51], 26, v16                         // 000000005520: D0C10032 0002209A
	v_cmp_lt_i32_e64 s[52:53], 27, v16                         // 000000005528: D0C10034 0002209B
	v_cndmask_b32_e64 v94, v31, v94, s[50:51]                  // 000000005530: D100005E 00CABD1F
	v_cndmask_b32_e64 v95, v31, v95, s[52:53]                  // 000000005538: D100005F 00D2BF1F
	v_cmp_lt_i32_e64 s[50:51], 32, v16                         // 000000005540: D0C10032 000220A0
	v_cmp_lt_i32_e64 s[52:53], 33, v16                         // 000000005548: D0C10034 000220A1
	v_cndmask_b32_e64 v96, v31, v96, s[50:51]                  // 000000005550: D1000060 00CAC11F
	v_cndmask_b32_e64 v97, v31, v97, s[52:53]                  // 000000005558: D1000061 00D2C31F
	v_cmp_lt_i32_e64 s[50:51], 34, v16                         // 000000005560: D0C10032 000220A2
	v_cmp_lt_i32_e64 s[52:53], 35, v16                         // 000000005568: D0C10034 000220A3
	v_cndmask_b32_e64 v98, v31, v98, s[50:51]                  // 000000005570: D1000062 00CAC51F
	v_cndmask_b32_e64 v99, v31, v99, s[52:53]                  // 000000005578: D1000063 00D2C71F
	v_cmp_lt_i32_e64 s[50:51], 40, v16                         // 000000005580: D0C10032 000220A8
	v_cmp_lt_i32_e64 s[52:53], 41, v16                         // 000000005588: D0C10034 000220A9
	v_cndmask_b32_e64 v100, v31, v100, s[50:51]                // 000000005590: D1000064 00CAC91F
	v_cndmask_b32_e64 v101, v31, v101, s[52:53]                // 000000005598: D1000065 00D2CB1F
	v_cmp_lt_i32_e64 s[50:51], 42, v16                         // 0000000055A0: D0C10032 000220AA
	v_cmp_lt_i32_e64 s[52:53], 43, v16                         // 0000000055A8: D0C10034 000220AB
	v_cndmask_b32_e64 v102, v31, v102, s[50:51]                // 0000000055B0: D1000066 00CACD1F
	v_cndmask_b32_e64 v103, v31, v103, s[52:53]                // 0000000055B8: D1000067 00D2CF1F
	v_cmp_lt_i32_e64 s[50:51], 48, v16                         // 0000000055C0: D0C10032 000220B0
	v_cmp_lt_i32_e64 s[52:53], 49, v16                         // 0000000055C8: D0C10034 000220B1
	v_cndmask_b32_e64 v104, v31, v104, s[50:51]                // 0000000055D0: D1000068 00CAD11F
	v_cndmask_b32_e64 v105, v31, v105, s[52:53]                // 0000000055D8: D1000069 00D2D31F
	v_cmp_lt_i32_e64 s[50:51], 50, v16                         // 0000000055E0: D0C10032 000220B2
	v_cmp_lt_i32_e64 s[52:53], 51, v16                         // 0000000055E8: D0C10034 000220B3
	v_cndmask_b32_e64 v106, v31, v106, s[50:51]                // 0000000055F0: D100006A 00CAD51F
	v_cndmask_b32_e64 v107, v31, v107, s[52:53]                // 0000000055F8: D100006B 00D2D71F
	v_cmp_lt_i32_e64 s[50:51], 56, v16                         // 000000005600: D0C10032 000220B8
	v_cmp_lt_i32_e64 s[52:53], 57, v16                         // 000000005608: D0C10034 000220B9
	v_cndmask_b32_e64 v108, v31, v108, s[50:51]                // 000000005610: D100006C 00CAD91F
	v_cndmask_b32_e64 v109, v31, v109, s[52:53]                // 000000005618: D100006D 00D2DB1F
	v_cmp_lt_i32_e64 s[50:51], 58, v16                         // 000000005620: D0C10032 000220BA
	v_cmp_lt_i32_e64 s[52:53], 59, v16                         // 000000005628: D0C10034 000220BB
	v_cndmask_b32_e64 v110, v31, v110, s[50:51]                // 000000005630: D100006E 00CADD1F
	v_cndmask_b32_e64 v111, v31, v111, s[52:53]                // 000000005638: D100006F 00D2DF1F

0000000000005640 <label_06D0>:
	s_waitcnt lgkmcnt(0)                                       // 000000005640: BF8CC07F
	s_barrier                                                  // 000000005644: BF8A0000
	v_mfma_f32_32x32x16_fp8_fp8 v[112:127], v[192:193], v[48:49], v[112:127]// 000000005648: D3F70070 05C261C0
	v_max3_f32 v25, v80, v81, v28                              // 000000005650: D1D30019 0472A350
	v_max3_f32 v25, v82, v83, v25                              // 000000005658: D1D30019 0466A752
	v_max3_f32 v25, v84, v85, v25                              // 000000005660: D1D30019 0466AB54
	v_max3_f32 v25, v86, v87, v25                              // 000000005668: D1D30019 0466AF56
	v_max3_f32 v25, v88, v89, v25                              // 000000005670: D1D30019 0466B358
	v_max3_f32 v25, v90, v91, v25                              // 000000005678: D1D30019 0466B75A
	v_max3_f32 v25, v92, v93, v25                              // 000000005680: D1D30019 0466BB5C
	v_mfma_f32_32x32x16_fp8_fp8 v[112:127], v[194:195], v[50:51], v[112:127]// 000000005688: D3F70070 05C265C2
	v_max3_f32 v25, v94, v95, v25                              // 000000005690: D1D30019 0466BF5E
	v_max3_f32 v25, v96, v97, v25                              // 000000005698: D1D30019 0466C360
	v_max3_f32 v25, v98, v99, v25                              // 0000000056A0: D1D30019 0466C762
	v_max3_f32 v25, v100, v101, v25                            // 0000000056A8: D1D30019 0466CB64
	v_max3_f32 v25, v102, v103, v25                            // 0000000056B0: D1D30019 0466CF66
	v_max3_f32 v25, v104, v105, v25                            // 0000000056B8: D1D30019 0466D368
	v_max3_f32 v25, v106, v107, v25                            // 0000000056C0: D1D30019 0466D76A
	v_mfma_f32_32x32x16_fp8_fp8 v[112:127], v[196:197], v[52:53], v[112:127]// 0000000056C8: D3F70070 05C269C4
	v_max3_f32 v25, v108, v109, v25                            // 0000000056D0: D1D30019 0466DB6C
	v_max3_f32 v25, v110, v111, v25                            // 0000000056D8: D1D30019 0466DF6E
	ds_permute_b32 v24, v32, v25                               // 0000000056E0: D87C0000 18001920
	v_mfma_f32_32x32x16_fp8_fp8 v[112:127], v[198:199], v[54:55], v[112:127]// 0000000056E8: D3F70070 05C26DC6
	v_nop                                                      // 0000000056F0: 7E000000
	s_nop 0                                                    // 0000000056F4: BF800000
	v_mfma_f32_32x32x16_fp8_fp8 v[128:143], v[200:201], v[48:49], v[128:143]// 0000000056F8: D3F70080 060261C8
	v_nop                                                      // 000000005700: 7E000000
	v_mfma_f32_32x32x16_fp8_fp8 v[128:143], v[202:203], v[50:51], v[128:143]// 000000005704: D3F70080 060265CA
	s_waitcnt lgkmcnt(0)                                       // 00000000570C: BF8CC07F
	v_max_f32_e32 v25, v24, v25                                // 000000005710: 16323318
	v_sub_f32_e32 v20, v28, v25                                // 000000005714: 0428331C
	v_mov_b32_e32 v28, v25                                     // 000000005718: 7E380319
	v_mul_f32_e32 v27, s74, v25                                // 00000000571C: 0A36324A
	v_mul_f32_e32 v20, s74, v20                                // 000000005720: 0A28284A
	v_mfma_f32_32x32x16_fp8_fp8 v[128:143], v[204:205], v[52:53], v[128:143]// 000000005724: D3F70080 060269CC
	v_exp_f32_e32 v20, v20                                     // 00000000572C: 7E284114
	v_fma_f32 v80, v80, s74, -v27                              // 000000005730: D1CB0050 846C9550
	v_fma_f32 v81, v81, s74, -v27                              // 000000005738: D1CB0051 846C9551
	v_fma_f32 v82, v82, s74, -v27                              // 000000005740: D1CB0052 846C9552
	v_mfma_f32_32x32x16_fp8_fp8 v[128:143], v[206:207], v[54:55], v[128:143]// 000000005748: D3F70080 06026DCE
	v_fma_f32 v83, v83, s74, -v27                              // 000000005750: D1CB0053 846C9553
	v_fma_f32 v84, v84, s74, -v27                              // 000000005758: D1CB0054 846C9554
	v_fma_f32 v85, v85, s74, -v27                              // 000000005760: D1CB0055 846C9555
	v_fma_f32 v86, v86, s74, -v27                              // 000000005768: D1CB0056 846C9556
	v_fma_f32 v87, v87, s74, -v27                              // 000000005770: D1CB0057 846C9557
	v_fma_f32 v88, v88, s74, -v27                              // 000000005778: D1CB0058 846C9558
	v_fma_f32 v89, v89, s74, -v27                              // 000000005780: D1CB0059 846C9559
	v_mfma_f32_32x32x16_fp8_fp8 v[144:159], v[208:209], v[48:49], v[144:159]// 000000005788: D3F70090 064261D0
	v_fma_f32 v90, v90, s74, -v27                              // 000000005790: D1CB005A 846C955A
	v_fma_f32 v91, v91, s74, -v27                              // 000000005798: D1CB005B 846C955B
	v_fma_f32 v92, v92, s74, -v27                              // 0000000057A0: D1CB005C 846C955C
	v_fma_f32 v93, v93, s74, -v27                              // 0000000057A8: D1CB005D 846C955D
	v_fma_f32 v94, v94, s74, -v27                              // 0000000057B0: D1CB005E 846C955E
	v_fma_f32 v95, v95, s74, -v27                              // 0000000057B8: D1CB005F 846C955F
	v_fma_f32 v96, v96, s74, -v27                              // 0000000057C0: D1CB0060 846C9560
	v_mfma_f32_32x32x16_fp8_fp8 v[144:159], v[210:211], v[50:51], v[144:159]// 0000000057C8: D3F70090 064265D2
	v_fma_f32 v97, v97, s74, -v27                              // 0000000057D0: D1CB0061 846C9561
	v_fma_f32 v98, v98, s74, -v27                              // 0000000057D8: D1CB0062 846C9562
	v_fma_f32 v99, v99, s74, -v27                              // 0000000057E0: D1CB0063 846C9563
	v_fma_f32 v100, v100, s74, -v27                            // 0000000057E8: D1CB0064 846C9564
	v_fma_f32 v101, v101, s74, -v27                            // 0000000057F0: D1CB0065 846C9565
	v_fma_f32 v102, v102, s74, -v27                            // 0000000057F8: D1CB0066 846C9566
	v_fma_f32 v103, v103, s74, -v27                            // 000000005800: D1CB0067 846C9567
	v_mfma_f32_32x32x16_fp8_fp8 v[144:159], v[212:213], v[52:53], v[144:159]// 000000005808: D3F70090 064269D4
	v_fma_f32 v104, v104, s74, -v27                            // 000000005810: D1CB0068 846C9568
	v_fma_f32 v105, v105, s74, -v27                            // 000000005818: D1CB0069 846C9569
	v_fma_f32 v106, v106, s74, -v27                            // 000000005820: D1CB006A 846C956A
	v_fma_f32 v107, v107, s74, -v27                            // 000000005828: D1CB006B 846C956B
	v_fma_f32 v108, v108, s74, -v27                            // 000000005830: D1CB006C 846C956C
	v_fma_f32 v109, v109, s74, -v27                            // 000000005838: D1CB006D 846C956D
	v_fma_f32 v110, v110, s74, -v27                            // 000000005840: D1CB006E 846C956E
	v_mfma_f32_32x32x16_fp8_fp8 v[144:159], v[214:215], v[54:55], v[144:159]// 000000005848: D3F70090 06426DD6
	v_fma_f32 v111, v111, s74, -v27                            // 000000005850: D1CB006F 846C956F
	v_exp_f32_e32 v80, v80                                     // 000000005858: 7EA04150
	v_exp_f32_e32 v81, v81                                     // 00000000585C: 7EA24151
	v_mfma_f32_32x32x16_fp8_fp8 v[160:175], v[216:217], v[48:49], v[160:175]// 000000005860: D3F700A0 068261D8
	v_exp_f32_e32 v82, v82                                     // 000000005868: 7EA44152
	v_exp_f32_e32 v83, v83                                     // 00000000586C: 7EA64153
	v_mfma_f32_32x32x16_fp8_fp8 v[160:175], v[218:219], v[50:51], v[160:175]// 000000005870: D3F700A0 068265DA
	v_exp_f32_e32 v84, v84                                     // 000000005878: 7EA84154
	v_exp_f32_e32 v85, v85                                     // 00000000587C: 7EAA4155
	v_mfma_f32_32x32x16_fp8_fp8 v[160:175], v[220:221], v[52:53], v[160:175]// 000000005880: D3F700A0 068269DC
	v_exp_f32_e32 v86, v86                                     // 000000005888: 7EAC4156
	v_exp_f32_e32 v87, v87                                     // 00000000588C: 7EAE4157
	v_mfma_f32_32x32x16_fp8_fp8 v[160:175], v[222:223], v[54:55], v[160:175]// 000000005890: D3F700A0 06826DDE
	s_waitcnt vmcnt(8)                                         // 000000005898: BF8C0F78
	s_barrier                                                  // 00000000589C: BF8A0000
	ds_read_b128 v[192:195], v12                               // 0000000058A0: D9FE0000 C000000C
	ds_read_b128 v[196:199], v12 offset:32                     // 0000000058A8: D9FE0020 C400000C
	ds_read_b128 v[200:203], v12 offset:64                     // 0000000058B0: D9FE0040 C800000C
	ds_read_b128 v[204:207], v12 offset:96                     // 0000000058B8: D9FE0060 CC00000C
	s_nop 15                                                   // 0000000058C0: BF80000F
	s_nop 15                                                   // 0000000058C4: BF80000F
	s_nop 10                                                   // 0000000058C8: BF80000A
	buffer_load_dword v224, v8, s[16:19], s32 offen            // 0000000058CC: E0501000 2004E008
	ds_read_b128 v[208:211], v12 offset:4352                   // 0000000058D4: D9FE1100 D000000C
	ds_read_b128 v[212:215], v12 offset:4384                   // 0000000058DC: D9FE1120 D400000C
	buffer_load_dword v225, v9, s[16:19], s32 offen            // 0000000058E4: E0501000 2004E109
	ds_read_b128 v[216:219], v12 offset:4416                   // 0000000058EC: D9FE1140 D800000C
	ds_read_b128 v[220:223], v12 offset:4448                   // 0000000058F4: D9FE1160 DC00000C
	buffer_load_dword v226, v10, s[16:19], s32 offen           // 0000000058FC: E0501000 2004E20A
	buffer_load_dword v227, v11, s[16:19], s32 offen           // 000000005904: E0501000 2004E30B
	s_add_i32 s32, s65, s32                                    // 00000000590C: 81202041
	s_add_u32 s34, 0xc0, s63                                   // 000000005910: 80223FFF 000000C0
	s_nop 0                                                    // 000000005918: BF800000
	s_cmp_lt_u32 s34, s62                                      // 00000000591C: BF0A3E22
	s_cselect_b32 s65, s65, 0                                  // 000000005920: 85418041
	s_add_i32 s72, s72, s73                                    // 000000005924: 81484948
	s_addk_i32 s63, 0x40                                       // 000000005928: B73F0040
	s_cmp_lt_i32 s63, s62                                      // 00000000592C: BF043E3F
	s_cbranch_scc0 label_1082                                  // 000000005930: BF8408F5
	s_barrier                                                  // 000000005934: BF8A0000
	s_waitcnt lgkmcnt(0)                                       // 000000005938: BF8CC07F
	v_mfma_f32_32x32x16_fp8_fp8 v[48:63], v[192:193], v[176:177], 0// 00000000593C: D3F70030 020361C0
	v_exp_f32_e32 v88, v88                                     // 000000005944: 7EB04158
	v_exp_f32_e32 v89, v89                                     // 000000005948: 7EB24159
	v_mfma_f32_32x32x16_fp8_fp8 v[48:63], v[194:195], v[178:179], v[48:63]// 00000000594C: D3F70030 04C365C2
	v_exp_f32_e32 v90, v90                                     // 000000005954: 7EB4415A
	v_exp_f32_e32 v91, v91                                     // 000000005958: 7EB6415B
	v_mfma_f32_32x32x16_fp8_fp8 v[48:63], v[196:197], v[180:181], v[48:63]// 00000000595C: D3F70030 04C369C4
	v_exp_f32_e32 v92, v92                                     // 000000005964: 7EB8415C
	v_exp_f32_e32 v93, v93                                     // 000000005968: 7EBA415D
	v_mfma_f32_32x32x16_fp8_fp8 v[48:63], v[198:199], v[182:183], v[48:63]// 00000000596C: D3F70030 04C36DC6
	v_exp_f32_e32 v94, v94                                     // 000000005974: 7EBC415E
	v_exp_f32_e32 v95, v95                                     // 000000005978: 7EBE415F
	v_mfma_f32_32x32x16_fp8_fp8 v[48:63], v[200:201], v[184:185], v[48:63]// 00000000597C: D3F70030 04C371C8
	v_exp_f32_e32 v96, v96                                     // 000000005984: 7EC04160
	v_exp_f32_e32 v97, v97                                     // 000000005988: 7EC24161
	v_mfma_f32_32x32x16_fp8_fp8 v[48:63], v[202:203], v[186:187], v[48:63]// 00000000598C: D3F70030 04C375CA
	v_exp_f32_e32 v98, v98                                     // 000000005994: 7EC44162
	v_exp_f32_e32 v99, v99                                     // 000000005998: 7EC64163
	v_mfma_f32_32x32x16_fp8_fp8 v[48:63], v[204:205], v[188:189], v[48:63]// 00000000599C: D3F70030 04C379CC
	v_exp_f32_e32 v100, v100                                   // 0000000059A4: 7EC84164
	v_exp_f32_e32 v101, v101                                   // 0000000059A8: 7ECA4165
	v_mfma_f32_32x32x16_fp8_fp8 v[48:63], v[206:207], v[190:191], v[48:63]// 0000000059AC: D3F70030 04C37DCE
	v_exp_f32_e32 v102, v102                                   // 0000000059B4: 7ECC4166
	v_exp_f32_e32 v103, v103                                   // 0000000059B8: 7ECE4167
	v_mfma_f32_32x32x16_fp8_fp8 v[64:79], v[208:209], v[176:177], 0// 0000000059BC: D3F70040 020361D0
	v_exp_f32_e32 v104, v104                                   // 0000000059C4: 7ED04168
	v_exp_f32_e32 v105, v105                                   // 0000000059C8: 7ED24169
	v_mfma_f32_32x32x16_fp8_fp8 v[64:79], v[210:211], v[178:179], v[64:79]// 0000000059CC: D3F70040 050365D2
	v_exp_f32_e32 v106, v106                                   // 0000000059D4: 7ED4416A
	v_exp_f32_e32 v107, v107                                   // 0000000059D8: 7ED6416B
	v_mfma_f32_32x32x16_fp8_fp8 v[64:79], v[212:213], v[180:181], v[64:79]// 0000000059DC: D3F70040 050369D4
	v_exp_f32_e32 v108, v108                                   // 0000000059E4: 7ED8416C
	v_exp_f32_e32 v109, v109                                   // 0000000059E8: 7EDA416D
	v_mfma_f32_32x32x16_fp8_fp8 v[64:79], v[214:215], v[182:183], v[64:79]// 0000000059EC: D3F70040 05036DD6
	s_waitcnt vmcnt(8)                                         // 0000000059F4: BF8C0F78
	s_barrier                                                  // 0000000059F8: BF8A0000
	v_mfma_f32_32x32x16_fp8_fp8 v[64:79], v[216:217], v[184:185], v[64:79]// 0000000059FC: D3F70040 050371D8
	v_exp_f32_e32 v110, v110                                   // 000000005A04: 7EDC416E
	v_exp_f32_e32 v111, v111                                   // 000000005A08: 7EDE416F
	v_mfma_f32_32x32x16_fp8_fp8 v[64:79], v[218:219], v[186:187], v[64:79]// 000000005A0C: D3F70040 050375DA
	v_mul_f32_e32 v22, v20, v22                                // 000000005A14: 0A2C2D14
	v_add_f32_e32 v38, v81, v80                                // 000000005A18: 024CA151
	v_add_f32_e32 v38, v82, v38                                // 000000005A1C: 024C4D52
	v_add_f32_e32 v38, v83, v38                                // 000000005A20: 024C4D53
	v_mfma_f32_32x32x16_fp8_fp8 v[64:79], v[220:221], v[188:189], v[64:79]// 000000005A24: D3F70040 050379DC
	v_add_f32_e32 v38, v84, v38                                // 000000005A2C: 024C4D54
	v_add_f32_e32 v38, v85, v38                                // 000000005A30: 024C4D55
	v_add_f32_e32 v38, v86, v38                                // 000000005A34: 024C4D56
	v_add_f32_e32 v38, v87, v38                                // 000000005A38: 024C4D57
	v_add_f32_e32 v38, v88, v38                                // 000000005A3C: 024C4D58
	v_add_f32_e32 v38, v89, v38                                // 000000005A40: 024C4D59
	v_add_f32_e32 v38, v90, v38                                // 000000005A44: 024C4D5A
	v_mfma_f32_32x32x16_fp8_fp8 v[64:79], v[222:223], v[190:191], v[64:79]// 000000005A48: D3F70040 05037DDE
	v_perm_b32 v16, v229, v228, s69                            // 000000005A50: D1ED0010 0117C9E5
	v_perm_b32 v17, v229, v228, s70                            // 000000005A58: D1ED0011 011BC9E5
	v_perm_b32 v18, v231, v230, s69                            // 000000005A60: D1ED0012 0117CDE7
	v_perm_b32 v19, v231, v230, s70                            // 000000005A68: D1ED0013 011BCDE7
	v_perm_b32 v232, v18, v16, s68                             // 000000005A70: D1ED00E8 01122112
	v_perm_b32 v233, v18, v16, s67                             // 000000005A78: D1ED00E9 010E2112
	v_perm_b32 v234, v19, v17, s68                             // 000000005A80: D1ED00EA 01122313
	v_perm_b32 v235, v19, v17, s67                             // 000000005A88: D1ED00EB 010E2313
	v_add_f32_e32 v38, v91, v38                                // 000000005A90: 024C4D5B
	v_add_f32_e32 v38, v92, v38                                // 000000005A94: 024C4D5C
	v_add_f32_e32 v38, v93, v38                                // 000000005A98: 024C4D5D
	v_add_f32_e32 v38, v94, v38                                // 000000005A9C: 024C4D5E
	v_add_f32_e32 v38, v95, v38                                // 000000005AA0: 024C4D5F
	v_add_f32_e32 v38, v96, v38                                // 000000005AA4: 024C4D60
	v_add_f32_e32 v38, v97, v38                                // 000000005AA8: 024C4D61
	v_add_f32_e32 v38, v98, v38                                // 000000005AAC: 024C4D62
	v_add_f32_e32 v38, v99, v38                                // 000000005AB0: 024C4D63
	v_add_f32_e32 v38, v100, v38                               // 000000005AB4: 024C4D64
	v_add_f32_e32 v38, v101, v38                               // 000000005AB8: 024C4D65
	v_add_f32_e32 v38, v102, v38                               // 000000005ABC: 024C4D66
	v_add_f32_e32 v38, v103, v38                               // 000000005AC0: 024C4D67
	v_add_f32_e32 v38, v104, v38                               // 000000005AC4: 024C4D68
	v_add_f32_e32 v38, v105, v38                               // 000000005AC8: 024C4D69
	v_add_f32_e32 v38, v106, v38                               // 000000005ACC: 024C4D6A
	v_add_f32_e32 v38, v107, v38                               // 000000005AD0: 024C4D6B
	v_add_f32_e32 v38, v108, v38                               // 000000005AD4: 024C4D6C
	v_add_f32_e32 v38, v109, v38                               // 000000005AD8: 024C4D6D
	v_add_f32_e32 v38, v110, v38                               // 000000005ADC: 024C4D6E
	v_add_f32_e32 v38, v111, v38                               // 000000005AE0: 024C4D6F
	v_add_f32_e32 v22, v38, v22                                // 000000005AE4: 022C2D26
	v_cvt_pk_fp8_f32 v80, v80, v81                             // 000000005AE8: D2A20050 0002A350
	v_cvt_pk_fp8_f32 v80, v82, v83 op_sel:[0,0,1]              // 000000005AF0: D2A24050 0002A752
	v_cvt_pk_fp8_f32 v81, v84, v85                             // 000000005AF8: D2A20051 0002AB54
	v_cvt_pk_fp8_f32 v81, v86, v87 op_sel:[0,0,1]              // 000000005B00: D2A24051 0002AF56
	v_cvt_pk_fp8_f32 v82, v88, v89                             // 000000005B08: D2A20052 0002B358
	v_cvt_pk_fp8_f32 v82, v90, v91 op_sel:[0,0,1]              // 000000005B10: D2A24052 0002B75A
	v_cvt_pk_fp8_f32 v83, v92, v93                             // 000000005B18: D2A20053 0002BB5C
	v_cvt_pk_fp8_f32 v83, v94, v95 op_sel:[0,0,1]              // 000000005B20: D2A24053 0002BF5E
	v_cvt_pk_fp8_f32 v84, v96, v97                             // 000000005B28: D2A20054 0002C360
	v_cvt_pk_fp8_f32 v84, v98, v99 op_sel:[0,0,1]              // 000000005B30: D2A24054 0002C762
	v_cvt_pk_fp8_f32 v85, v100, v101                           // 000000005B38: D2A20055 0002CB64
	v_cvt_pk_fp8_f32 v85, v102, v103 op_sel:[0,0,1]            // 000000005B40: D2A24055 0002CF66
	v_cvt_pk_fp8_f32 v86, v104, v105                           // 000000005B48: D2A20056 0002D368
	v_cvt_pk_fp8_f32 v86, v106, v107 op_sel:[0,0,1]            // 000000005B50: D2A24056 0002D76A
	v_cvt_pk_fp8_f32 v87, v108, v109                           // 000000005B58: D2A20057 0002DB6C
	v_cvt_pk_fp8_f32 v87, v110, v111 op_sel:[0,0,1]            // 000000005B60: D2A24057 0002DF6E
	s_nop 0                                                    // 000000005B68: BF800000
	v_mov_b32_e32 v21, v20                                     // 000000005B6C: 7E2A0314
	v_mul_f32_e32 v112, v20, v112                              // 000000005B70: 0AE0E114
	v_mul_f32_e32 v113, v20, v113                              // 000000005B74: 0AE2E314
	v_pk_mul_f32 v[114:115], v[20:21], v[114:115]              // 000000005B78: D3B14072 1802E514
	v_pk_mul_f32 v[116:117], v[20:21], v[116:117]              // 000000005B80: D3B14074 1802E914
	v_pk_mul_f32 v[118:119], v[20:21], v[118:119]              // 000000005B88: D3B14076 1802ED14
	v_pk_mul_f32 v[120:121], v[20:21], v[120:121]              // 000000005B90: D3B14078 1802F114
	v_pk_mul_f32 v[122:123], v[20:21], v[122:123]              // 000000005B98: D3B1407A 1802F514
	v_pk_mul_f32 v[124:125], v[20:21], v[124:125]              // 000000005BA0: D3B1407C 1802F914
	v_pk_mul_f32 v[126:127], v[20:21], v[126:127]              // 000000005BA8: D3B1407E 1802FD14
	v_pk_mul_f32 v[128:129], v[20:21], v[128:129]              // 000000005BB0: D3B14080 18030114
	v_pk_mul_f32 v[130:131], v[20:21], v[130:131]              // 000000005BB8: D3B14082 18030514
	v_pk_mul_f32 v[132:133], v[20:21], v[132:133]              // 000000005BC0: D3B14084 18030914
	v_pk_mul_f32 v[134:135], v[20:21], v[134:135]              // 000000005BC8: D3B14086 18030D14
	v_pk_mul_f32 v[136:137], v[20:21], v[136:137]              // 000000005BD0: D3B14088 18031114
	v_pk_mul_f32 v[138:139], v[20:21], v[138:139]              // 000000005BD8: D3B1408A 18031514
	v_pk_mul_f32 v[140:141], v[20:21], v[140:141]              // 000000005BE0: D3B1408C 18031914
	v_pk_mul_f32 v[142:143], v[20:21], v[142:143]              // 000000005BE8: D3B1408E 18031D14
	v_pk_mul_f32 v[144:145], v[20:21], v[144:145]              // 000000005BF0: D3B14090 18032114
	v_pk_mul_f32 v[146:147], v[20:21], v[146:147]              // 000000005BF8: D3B14092 18032514
	v_pk_mul_f32 v[148:149], v[20:21], v[148:149]              // 000000005C00: D3B14094 18032914
	v_pk_mul_f32 v[150:151], v[20:21], v[150:151]              // 000000005C08: D3B14096 18032D14
	v_pk_mul_f32 v[152:153], v[20:21], v[152:153]              // 000000005C10: D3B14098 18033114
	v_pk_mul_f32 v[154:155], v[20:21], v[154:155]              // 000000005C18: D3B1409A 18033514
	v_pk_mul_f32 v[156:157], v[20:21], v[156:157]              // 000000005C20: D3B1409C 18033914
	v_pk_mul_f32 v[158:159], v[20:21], v[158:159]              // 000000005C28: D3B1409E 18033D14
	v_pk_mul_f32 v[160:161], v[20:21], v[160:161]              // 000000005C30: D3B140A0 18034114
	v_pk_mul_f32 v[162:163], v[20:21], v[162:163]              // 000000005C38: D3B140A2 18034514
	v_pk_mul_f32 v[164:165], v[20:21], v[164:165]              // 000000005C40: D3B140A4 18034914
	v_pk_mul_f32 v[166:167], v[20:21], v[166:167]              // 000000005C48: D3B140A6 18034D14
	v_pk_mul_f32 v[168:169], v[20:21], v[168:169]              // 000000005C50: D3B140A8 18035114
	v_pk_mul_f32 v[170:171], v[20:21], v[170:171]              // 000000005C58: D3B140AA 18035514
	v_pk_mul_f32 v[172:173], v[20:21], v[172:173]              // 000000005C60: D3B140AC 18035914
	v_pk_mul_f32 v[174:175], v[20:21], v[174:175]              // 000000005C68: D3B140AE 18035D14
	s_barrier                                                  // 000000005C70: BF8A0000
	ds_write_b32 v14, v232 offset:17408                        // 000000005C74: D81A4400 0000E80E
	ds_write_b32 v14, v233 offset:19488                        // 000000005C7C: D81A4C20 0000E90E
	ds_write_b32 v14, v234 offset:21568                        // 000000005C84: D81A5440 0000EA0E
	ds_write_b32 v14, v235 offset:23648                        // 000000005C8C: D81A5C60 0000EB0E
	s_waitcnt lgkmcnt(0)                                       // 000000005C94: BF8CC07F
	s_barrier                                                  // 000000005C98: BF8A0000
	s_mov_b32 m0, s54                                          // 000000005C9C: BEFC0036
	ds_read_b32 v192, v13 offset:17408                         // 000000005CA0: D86C4400 C000000D
	ds_read_b32 v193, v13 offset:17664                         // 000000005CA8: D86C4500 C100000D
	ds_read_b32 v194, v13 offset:17920                         // 000000005CB0: D86C4600 C200000D
	ds_read_b32 v195, v13 offset:18176                         // 000000005CB8: D86C4700 C300000D
	buffer_load_dword v4, s[12:15], s57 offen lds              // 000000005CC0: E0511000 39030004
	s_add_u32 m0, 0x880, m0                                    // 000000005CC8: 807C7CFF 00000880
	ds_read_b32 v196, v13 offset:18432                         // 000000005CD0: D86C4800 C400000D
	ds_read_b32 v197, v13 offset:18688                         // 000000005CD8: D86C4900 C500000D
	ds_read_b32 v198, v13 offset:18944                         // 000000005CE0: D86C4A00 C600000D
	ds_read_b32 v199, v13 offset:19200                         // 000000005CE8: D86C4B00 C700000D
	buffer_load_dword v5, s[12:15], s57 offen lds              // 000000005CF0: E0511000 39030005
	s_add_u32 m0, 0x880, m0                                    // 000000005CF8: 807C7CFF 00000880
	ds_read_b32 v200, v13 offset:17440                         // 000000005D00: D86C4420 C800000D
	ds_read_b32 v201, v13 offset:17696                         // 000000005D08: D86C4520 C900000D
	ds_read_b32 v202, v13 offset:17952                         // 000000005D10: D86C4620 CA00000D
	ds_read_b32 v203, v13 offset:18208                         // 000000005D18: D86C4720 CB00000D
	buffer_load_dword v6, s[12:15], s57 offen lds              // 000000005D20: E0511000 39030006
	s_add_u32 m0, 0x880, m0                                    // 000000005D28: 807C7CFF 00000880
	ds_read_b32 v204, v13 offset:18464                         // 000000005D30: D86C4820 CC00000D
	ds_read_b32 v205, v13 offset:18720                         // 000000005D38: D86C4920 CD00000D
	ds_read_b32 v206, v13 offset:18976                         // 000000005D40: D86C4A20 CE00000D
	ds_read_b32 v207, v13 offset:19232                         // 000000005D48: D86C4B20 CF00000D
	buffer_load_dword v7, s[12:15], s57 offen lds              // 000000005D50: E0511000 39030007
	s_add_u32 m0, 0x880, m0                                    // 000000005D58: 807C7CFF 00000880
	ds_read_b32 v208, v13 offset:17472                         // 000000005D60: D86C4440 D000000D
	ds_read_b32 v209, v13 offset:17728                         // 000000005D68: D86C4540 D100000D
	ds_read_b32 v210, v13 offset:17984                         // 000000005D70: D86C4640 D200000D
	ds_read_b32 v211, v13 offset:18240                         // 000000005D78: D86C4740 D300000D
	ds_read_b32 v212, v13 offset:18496                         // 000000005D80: D86C4840 D400000D
	ds_read_b32 v213, v13 offset:18752                         // 000000005D88: D86C4940 D500000D
	ds_read_b32 v214, v13 offset:19008                         // 000000005D90: D86C4A40 D600000D
	ds_read_b32 v215, v13 offset:19264                         // 000000005D98: D86C4B40 D700000D
	ds_read_b32 v216, v13 offset:17504                         // 000000005DA0: D86C4460 D800000D
	ds_read_b32 v217, v13 offset:17760                         // 000000005DA8: D86C4560 D900000D
	ds_read_b32 v218, v13 offset:18016                         // 000000005DB0: D86C4660 DA00000D
	ds_read_b32 v219, v13 offset:18272                         // 000000005DB8: D86C4760 DB00000D
	ds_read_b32 v220, v13 offset:18528                         // 000000005DC0: D86C4860 DC00000D
	ds_read_b32 v221, v13 offset:18784                         // 000000005DC8: D86C4960 DD00000D
	ds_read_b32 v222, v13 offset:19040                         // 000000005DD0: D86C4A60 DE00000D
	ds_read_b32 v223, v13 offset:19296                         // 000000005DD8: D86C4B60 DF00000D
	s_add_i32 s57, s64, s57                                    // 000000005DE0: 81393940
	s_add_u32 s34, 0x100, s63                                  // 000000005DE4: 80223FFF 00000100
	s_cmp_lt_u32 s34, s62                                      // 000000005DEC: BF0A3E22
	s_cselect_b32 s64, s64, 0                                  // 000000005DF0: 85408040
	s_nop 0                                                    // 000000005DF4: BF800000
	s_cmp_lt_i32 s72, s71                                      // 000000005DF8: BF044748
	s_cbranch_scc1 label_09CC                                  // 000000005DFC: BF85010C
	s_sub_i32 s34, s71, s72                                    // 000000005E00: 81A24847
	s_sub_i32 s35, s7, s29                                     // 000000005E04: 81A31D07
	s_and_b32 s35, s35, 63                                     // 000000005E08: 8623BF23
	s_add_i32 s34, s34, s35                                    // 000000005E0C: 81222322
	v_add_i32 v16, v29, s34                                    // 000000005E10: D29C0010 0000451D
	v_cmp_lt_i32_e64 s[50:51], v16, 0                          // 000000005E18: D0C10032 00010110
	v_cmp_lt_i32_e64 s[52:53], v16, 1                          // 000000005E20: D0C10034 00010310
	v_cndmask_b32_e64 v48, v48, v31, s[50:51]                  // 000000005E28: D1000030 00CA3F30
	v_cndmask_b32_e64 v49, v49, v31, s[52:53]                  // 000000005E30: D1000031 00D23F31
	v_cmp_lt_i32_e64 s[50:51], v16, 2                          // 000000005E38: D0C10032 00010510
	v_cmp_lt_i32_e64 s[52:53], v16, 3                          // 000000005E40: D0C10034 00010710
	v_cndmask_b32_e64 v50, v50, v31, s[50:51]                  // 000000005E48: D1000032 00CA3F32
	v_cndmask_b32_e64 v51, v51, v31, s[52:53]                  // 000000005E50: D1000033 00D23F33
	v_cmp_lt_i32_e64 s[50:51], v16, 8                          // 000000005E58: D0C10032 00011110
	v_cmp_lt_i32_e64 s[52:53], v16, 9                          // 000000005E60: D0C10034 00011310
	v_cndmask_b32_e64 v52, v52, v31, s[50:51]                  // 000000005E68: D1000034 00CA3F34
	v_cndmask_b32_e64 v53, v53, v31, s[52:53]                  // 000000005E70: D1000035 00D23F35
	v_cmp_lt_i32_e64 s[50:51], v16, 10                         // 000000005E78: D0C10032 00011510
	v_cmp_lt_i32_e64 s[52:53], v16, 11                         // 000000005E80: D0C10034 00011710
	v_cndmask_b32_e64 v54, v54, v31, s[50:51]                  // 000000005E88: D1000036 00CA3F36
	v_cndmask_b32_e64 v55, v55, v31, s[52:53]                  // 000000005E90: D1000037 00D23F37
	v_cmp_lt_i32_e64 s[50:51], v16, 16                         // 000000005E98: D0C10032 00012110
	v_cmp_lt_i32_e64 s[52:53], v16, 17                         // 000000005EA0: D0C10034 00012310
	v_cndmask_b32_e64 v56, v56, v31, s[50:51]                  // 000000005EA8: D1000038 00CA3F38
	v_cndmask_b32_e64 v57, v57, v31, s[52:53]                  // 000000005EB0: D1000039 00D23F39
	v_cmp_lt_i32_e64 s[50:51], v16, 18                         // 000000005EB8: D0C10032 00012510
	v_cmp_lt_i32_e64 s[52:53], v16, 19                         // 000000005EC0: D0C10034 00012710
	v_cndmask_b32_e64 v58, v58, v31, s[50:51]                  // 000000005EC8: D100003A 00CA3F3A
	v_cndmask_b32_e64 v59, v59, v31, s[52:53]                  // 000000005ED0: D100003B 00D23F3B
	v_cmp_lt_i32_e64 s[50:51], v16, 24                         // 000000005ED8: D0C10032 00013110
	v_cmp_lt_i32_e64 s[52:53], v16, 25                         // 000000005EE0: D0C10034 00013310
	v_cndmask_b32_e64 v60, v60, v31, s[50:51]                  // 000000005EE8: D100003C 00CA3F3C
	v_cndmask_b32_e64 v61, v61, v31, s[52:53]                  // 000000005EF0: D100003D 00D23F3D
	v_cmp_lt_i32_e64 s[50:51], v16, 26                         // 000000005EF8: D0C10032 00013510
	v_cmp_lt_i32_e64 s[52:53], v16, 27                         // 000000005F00: D0C10034 00013710
	v_cndmask_b32_e64 v62, v62, v31, s[50:51]                  // 000000005F08: D100003E 00CA3F3E
	v_cndmask_b32_e64 v63, v63, v31, s[52:53]                  // 000000005F10: D100003F 00D23F3F
	v_cmp_lt_i32_e64 s[50:51], v16, 32                         // 000000005F18: D0C10032 00014110
	v_cmp_lt_i32_e64 s[52:53], v16, 33                         // 000000005F20: D0C10034 00014310
	v_cndmask_b32_e64 v64, v64, v31, s[50:51]                  // 000000005F28: D1000040 00CA3F40
	v_cndmask_b32_e64 v65, v65, v31, s[52:53]                  // 000000005F30: D1000041 00D23F41
	v_cmp_lt_i32_e64 s[50:51], v16, 34                         // 000000005F38: D0C10032 00014510
	v_cmp_lt_i32_e64 s[52:53], v16, 35                         // 000000005F40: D0C10034 00014710
	v_cndmask_b32_e64 v66, v66, v31, s[50:51]                  // 000000005F48: D1000042 00CA3F42
	v_cndmask_b32_e64 v67, v67, v31, s[52:53]                  // 000000005F50: D1000043 00D23F43
	v_cmp_lt_i32_e64 s[50:51], v16, 40                         // 000000005F58: D0C10032 00015110
	v_cmp_lt_i32_e64 s[52:53], v16, 41                         // 000000005F60: D0C10034 00015310
	v_cndmask_b32_e64 v68, v68, v31, s[50:51]                  // 000000005F68: D1000044 00CA3F44
	v_cndmask_b32_e64 v69, v69, v31, s[52:53]                  // 000000005F70: D1000045 00D23F45
	v_cmp_lt_i32_e64 s[50:51], v16, 42                         // 000000005F78: D0C10032 00015510
	v_cmp_lt_i32_e64 s[52:53], v16, 43                         // 000000005F80: D0C10034 00015710
	v_cndmask_b32_e64 v70, v70, v31, s[50:51]                  // 000000005F88: D1000046 00CA3F46
	v_cndmask_b32_e64 v71, v71, v31, s[52:53]                  // 000000005F90: D1000047 00D23F47
	v_cmp_lt_i32_e64 s[50:51], v16, 48                         // 000000005F98: D0C10032 00016110
	v_cmp_lt_i32_e64 s[52:53], v16, 49                         // 000000005FA0: D0C10034 00016310
	v_cndmask_b32_e64 v72, v72, v31, s[50:51]                  // 000000005FA8: D1000048 00CA3F48
	v_cndmask_b32_e64 v73, v73, v31, s[52:53]                  // 000000005FB0: D1000049 00D23F49
	v_cmp_lt_i32_e64 s[50:51], v16, 50                         // 000000005FB8: D0C10032 00016510
	v_cmp_lt_i32_e64 s[52:53], v16, 51                         // 000000005FC0: D0C10034 00016710
	v_cndmask_b32_e64 v74, v74, v31, s[50:51]                  // 000000005FC8: D100004A 00CA3F4A
	v_cndmask_b32_e64 v75, v75, v31, s[52:53]                  // 000000005FD0: D100004B 00D23F4B
	v_cmp_lt_i32_e64 s[50:51], v16, 56                         // 000000005FD8: D0C10032 00017110
	v_cmp_lt_i32_e64 s[52:53], v16, 57                         // 000000005FE0: D0C10034 00017310
	v_cndmask_b32_e64 v76, v76, v31, s[50:51]                  // 000000005FE8: D100004C 00CA3F4C
	v_cndmask_b32_e64 v77, v77, v31, s[52:53]                  // 000000005FF0: D100004D 00D23F4D
	v_cmp_lt_i32_e64 s[50:51], v16, 58                         // 000000005FF8: D0C10032 00017510
	v_cmp_lt_i32_e64 s[52:53], v16, 59                         // 000000006000: D0C10034 00017710
	v_cndmask_b32_e64 v78, v78, v31, s[50:51]                  // 000000006008: D100004E 00CA3F4E
	v_cndmask_b32_e64 v79, v79, v31, s[52:53]                  // 000000006010: D100004F 00D23F4F
	s_nop 0                                                    // 000000006018: BF800000
	s_cmp_lt_i32 s72, s76                                      // 00000000601C: BF044C48
	s_cbranch_scc1 label_09CC                                  // 000000006020: BF850083
	s_sub_i32 s34, s7, s72                                     // 000000006024: 81A24807
	v_sub_i32 v16, s34, v30                                    // 000000006028: D29D0010 00023C22
	v_cmp_lt_i32_e64 s[50:51], 0, v16                          // 000000006030: D0C10032 00022080
	v_cmp_lt_i32_e64 s[52:53], 1, v16                          // 000000006038: D0C10034 00022081
	v_cndmask_b32_e64 v48, v31, v48, s[50:51]                  // 000000006040: D1000030 00CA611F
	v_cndmask_b32_e64 v49, v31, v49, s[52:53]                  // 000000006048: D1000031 00D2631F
	v_cmp_lt_i32_e64 s[50:51], 2, v16                          // 000000006050: D0C10032 00022082
	v_cmp_lt_i32_e64 s[52:53], 3, v16                          // 000000006058: D0C10034 00022083
	v_cndmask_b32_e64 v50, v31, v50, s[50:51]                  // 000000006060: D1000032 00CA651F
	v_cndmask_b32_e64 v51, v31, v51, s[52:53]                  // 000000006068: D1000033 00D2671F
	v_cmp_lt_i32_e64 s[50:51], 8, v16                          // 000000006070: D0C10032 00022088
	v_cmp_lt_i32_e64 s[52:53], 9, v16                          // 000000006078: D0C10034 00022089
	v_cndmask_b32_e64 v52, v31, v52, s[50:51]                  // 000000006080: D1000034 00CA691F
	v_cndmask_b32_e64 v53, v31, v53, s[52:53]                  // 000000006088: D1000035 00D26B1F
	v_cmp_lt_i32_e64 s[50:51], 10, v16                         // 000000006090: D0C10032 0002208A
	v_cmp_lt_i32_e64 s[52:53], 11, v16                         // 000000006098: D0C10034 0002208B
	v_cndmask_b32_e64 v54, v31, v54, s[50:51]                  // 0000000060A0: D1000036 00CA6D1F
	v_cndmask_b32_e64 v55, v31, v55, s[52:53]                  // 0000000060A8: D1000037 00D26F1F
	v_cmp_lt_i32_e64 s[50:51], 16, v16                         // 0000000060B0: D0C10032 00022090
	v_cmp_lt_i32_e64 s[52:53], 17, v16                         // 0000000060B8: D0C10034 00022091
	v_cndmask_b32_e64 v56, v31, v56, s[50:51]                  // 0000000060C0: D1000038 00CA711F
	v_cndmask_b32_e64 v57, v31, v57, s[52:53]                  // 0000000060C8: D1000039 00D2731F
	v_cmp_lt_i32_e64 s[50:51], 18, v16                         // 0000000060D0: D0C10032 00022092
	v_cmp_lt_i32_e64 s[52:53], 19, v16                         // 0000000060D8: D0C10034 00022093
	v_cndmask_b32_e64 v58, v31, v58, s[50:51]                  // 0000000060E0: D100003A 00CA751F
	v_cndmask_b32_e64 v59, v31, v59, s[52:53]                  // 0000000060E8: D100003B 00D2771F
	v_cmp_lt_i32_e64 s[50:51], 24, v16                         // 0000000060F0: D0C10032 00022098
	v_cmp_lt_i32_e64 s[52:53], 25, v16                         // 0000000060F8: D0C10034 00022099
	v_cndmask_b32_e64 v60, v31, v60, s[50:51]                  // 000000006100: D100003C 00CA791F
	v_cndmask_b32_e64 v61, v31, v61, s[52:53]                  // 000000006108: D100003D 00D27B1F
	v_cmp_lt_i32_e64 s[50:51], 26, v16                         // 000000006110: D0C10032 0002209A
	v_cmp_lt_i32_e64 s[52:53], 27, v16                         // 000000006118: D0C10034 0002209B
	v_cndmask_b32_e64 v62, v31, v62, s[50:51]                  // 000000006120: D100003E 00CA7D1F
	v_cndmask_b32_e64 v63, v31, v63, s[52:53]                  // 000000006128: D100003F 00D27F1F
	v_cmp_lt_i32_e64 s[50:51], 32, v16                         // 000000006130: D0C10032 000220A0
	v_cmp_lt_i32_e64 s[52:53], 33, v16                         // 000000006138: D0C10034 000220A1
	v_cndmask_b32_e64 v64, v31, v64, s[50:51]                  // 000000006140: D1000040 00CA811F
	v_cndmask_b32_e64 v65, v31, v65, s[52:53]                  // 000000006148: D1000041 00D2831F
	v_cmp_lt_i32_e64 s[50:51], 34, v16                         // 000000006150: D0C10032 000220A2
	v_cmp_lt_i32_e64 s[52:53], 35, v16                         // 000000006158: D0C10034 000220A3
	v_cndmask_b32_e64 v66, v31, v66, s[50:51]                  // 000000006160: D1000042 00CA851F
	v_cndmask_b32_e64 v67, v31, v67, s[52:53]                  // 000000006168: D1000043 00D2871F
	v_cmp_lt_i32_e64 s[50:51], 40, v16                         // 000000006170: D0C10032 000220A8
	v_cmp_lt_i32_e64 s[52:53], 41, v16                         // 000000006178: D0C10034 000220A9
	v_cndmask_b32_e64 v68, v31, v68, s[50:51]                  // 000000006180: D1000044 00CA891F
	v_cndmask_b32_e64 v69, v31, v69, s[52:53]                  // 000000006188: D1000045 00D28B1F
	v_cmp_lt_i32_e64 s[50:51], 42, v16                         // 000000006190: D0C10032 000220AA
	v_cmp_lt_i32_e64 s[52:53], 43, v16                         // 000000006198: D0C10034 000220AB
	v_cndmask_b32_e64 v70, v31, v70, s[50:51]                  // 0000000061A0: D1000046 00CA8D1F
	v_cndmask_b32_e64 v71, v31, v71, s[52:53]                  // 0000000061A8: D1000047 00D28F1F
	v_cmp_lt_i32_e64 s[50:51], 48, v16                         // 0000000061B0: D0C10032 000220B0
	v_cmp_lt_i32_e64 s[52:53], 49, v16                         // 0000000061B8: D0C10034 000220B1
	v_cndmask_b32_e64 v72, v31, v72, s[50:51]                  // 0000000061C0: D1000048 00CA911F
	v_cndmask_b32_e64 v73, v31, v73, s[52:53]                  // 0000000061C8: D1000049 00D2931F
	v_cmp_lt_i32_e64 s[50:51], 50, v16                         // 0000000061D0: D0C10032 000220B2
	v_cmp_lt_i32_e64 s[52:53], 51, v16                         // 0000000061D8: D0C10034 000220B3
	v_cndmask_b32_e64 v74, v31, v74, s[50:51]                  // 0000000061E0: D100004A 00CA951F
	v_cndmask_b32_e64 v75, v31, v75, s[52:53]                  // 0000000061E8: D100004B 00D2971F
	v_cmp_lt_i32_e64 s[50:51], 56, v16                         // 0000000061F0: D0C10032 000220B8
	v_cmp_lt_i32_e64 s[52:53], 57, v16                         // 0000000061F8: D0C10034 000220B9
	v_cndmask_b32_e64 v76, v31, v76, s[50:51]                  // 000000006200: D100004C 00CA991F
	v_cndmask_b32_e64 v77, v31, v77, s[52:53]                  // 000000006208: D100004D 00D29B1F
	v_cmp_lt_i32_e64 s[50:51], 58, v16                         // 000000006210: D0C10032 000220BA
	v_cmp_lt_i32_e64 s[52:53], 59, v16                         // 000000006218: D0C10034 000220BB
	v_cndmask_b32_e64 v78, v31, v78, s[50:51]                  // 000000006220: D100004E 00CA9D1F
	v_cndmask_b32_e64 v79, v31, v79, s[52:53]                  // 000000006228: D100004F 00D29F1F

0000000000006230 <label_09CC>:
	s_waitcnt lgkmcnt(0)                                       // 000000006230: BF8CC07F
	s_barrier                                                  // 000000006234: BF8A0000
	v_mfma_f32_32x32x16_fp8_fp8 v[112:127], v[192:193], v[80:81], v[112:127]// 000000006238: D3F70070 05C2A1C0
	v_max3_f32 v25, v48, v49, v28                              // 000000006240: D1D30019 04726330
	v_max3_f32 v25, v50, v51, v25                              // 000000006248: D1D30019 04666732
	v_max3_f32 v25, v52, v53, v25                              // 000000006250: D1D30019 04666B34
	v_max3_f32 v25, v54, v55, v25                              // 000000006258: D1D30019 04666F36
	v_max3_f32 v25, v56, v57, v25                              // 000000006260: D1D30019 04667338
	v_max3_f32 v25, v58, v59, v25                              // 000000006268: D1D30019 0466773A
	v_max3_f32 v25, v60, v61, v25                              // 000000006270: D1D30019 04667B3C
	v_mfma_f32_32x32x16_fp8_fp8 v[112:127], v[194:195], v[82:83], v[112:127]// 000000006278: D3F70070 05C2A5C2
	v_max3_f32 v25, v62, v63, v25                              // 000000006280: D1D30019 04667F3E
	v_max3_f32 v25, v64, v65, v25                              // 000000006288: D1D30019 04668340
	v_max3_f32 v25, v66, v67, v25                              // 000000006290: D1D30019 04668742
	v_max3_f32 v25, v68, v69, v25                              // 000000006298: D1D30019 04668B44
	v_max3_f32 v25, v70, v71, v25                              // 0000000062A0: D1D30019 04668F46
	v_max3_f32 v25, v72, v73, v25                              // 0000000062A8: D1D30019 04669348
	v_max3_f32 v25, v74, v75, v25                              // 0000000062B0: D1D30019 0466974A
	v_mfma_f32_32x32x16_fp8_fp8 v[112:127], v[196:197], v[84:85], v[112:127]// 0000000062B8: D3F70070 05C2A9C4
	v_max3_f32 v25, v76, v77, v25                              // 0000000062C0: D1D30019 04669B4C
	v_max3_f32 v25, v78, v79, v25                              // 0000000062C8: D1D30019 04669F4E
	ds_permute_b32 v24, v32, v25                               // 0000000062D0: D87C0000 18001920
	v_mfma_f32_32x32x16_fp8_fp8 v[112:127], v[198:199], v[86:87], v[112:127]// 0000000062D8: D3F70070 05C2ADC6
	v_nop                                                      // 0000000062E0: 7E000000
	s_nop 0                                                    // 0000000062E4: BF800000
	v_mfma_f32_32x32x16_fp8_fp8 v[128:143], v[200:201], v[80:81], v[128:143]// 0000000062E8: D3F70080 0602A1C8
	v_nop                                                      // 0000000062F0: 7E000000
	v_mfma_f32_32x32x16_fp8_fp8 v[128:143], v[202:203], v[82:83], v[128:143]// 0000000062F4: D3F70080 0602A5CA
	s_waitcnt lgkmcnt(0)                                       // 0000000062FC: BF8CC07F
	v_max_f32_e32 v25, v24, v25                                // 000000006300: 16323318
	v_sub_f32_e32 v20, v28, v25                                // 000000006304: 0428331C
	v_mov_b32_e32 v28, v25                                     // 000000006308: 7E380319
	v_mul_f32_e32 v27, s74, v25                                // 00000000630C: 0A36324A
	v_mul_f32_e32 v20, s74, v20                                // 000000006310: 0A28284A
	v_mfma_f32_32x32x16_fp8_fp8 v[128:143], v[204:205], v[84:85], v[128:143]// 000000006314: D3F70080 0602A9CC
	v_exp_f32_e32 v20, v20                                     // 00000000631C: 7E284114
	v_fma_f32 v48, v48, s74, -v27                              // 000000006320: D1CB0030 846C9530
	v_fma_f32 v49, v49, s74, -v27                              // 000000006328: D1CB0031 846C9531
	v_fma_f32 v50, v50, s74, -v27                              // 000000006330: D1CB0032 846C9532
	v_mfma_f32_32x32x16_fp8_fp8 v[128:143], v[206:207], v[86:87], v[128:143]// 000000006338: D3F70080 0602ADCE
	v_fma_f32 v51, v51, s74, -v27                              // 000000006340: D1CB0033 846C9533
	v_fma_f32 v52, v52, s74, -v27                              // 000000006348: D1CB0034 846C9534
	v_fma_f32 v53, v53, s74, -v27                              // 000000006350: D1CB0035 846C9535
	v_fma_f32 v54, v54, s74, -v27                              // 000000006358: D1CB0036 846C9536
	v_fma_f32 v55, v55, s74, -v27                              // 000000006360: D1CB0037 846C9537
	v_fma_f32 v56, v56, s74, -v27                              // 000000006368: D1CB0038 846C9538
	v_fma_f32 v57, v57, s74, -v27                              // 000000006370: D1CB0039 846C9539
	v_mfma_f32_32x32x16_fp8_fp8 v[144:159], v[208:209], v[80:81], v[144:159]// 000000006378: D3F70090 0642A1D0
	v_fma_f32 v58, v58, s74, -v27                              // 000000006380: D1CB003A 846C953A
	v_fma_f32 v59, v59, s74, -v27                              // 000000006388: D1CB003B 846C953B
	v_fma_f32 v60, v60, s74, -v27                              // 000000006390: D1CB003C 846C953C
	v_fma_f32 v61, v61, s74, -v27                              // 000000006398: D1CB003D 846C953D
	v_fma_f32 v62, v62, s74, -v27                              // 0000000063A0: D1CB003E 846C953E
	v_fma_f32 v63, v63, s74, -v27                              // 0000000063A8: D1CB003F 846C953F
	v_fma_f32 v64, v64, s74, -v27                              // 0000000063B0: D1CB0040 846C9540
	v_mfma_f32_32x32x16_fp8_fp8 v[144:159], v[210:211], v[82:83], v[144:159]// 0000000063B8: D3F70090 0642A5D2
	v_fma_f32 v65, v65, s74, -v27                              // 0000000063C0: D1CB0041 846C9541
	v_fma_f32 v66, v66, s74, -v27                              // 0000000063C8: D1CB0042 846C9542
	v_fma_f32 v67, v67, s74, -v27                              // 0000000063D0: D1CB0043 846C9543
	v_fma_f32 v68, v68, s74, -v27                              // 0000000063D8: D1CB0044 846C9544
	v_fma_f32 v69, v69, s74, -v27                              // 0000000063E0: D1CB0045 846C9545
	v_fma_f32 v70, v70, s74, -v27                              // 0000000063E8: D1CB0046 846C9546
	v_fma_f32 v71, v71, s74, -v27                              // 0000000063F0: D1CB0047 846C9547
	v_mfma_f32_32x32x16_fp8_fp8 v[144:159], v[212:213], v[84:85], v[144:159]// 0000000063F8: D3F70090 0642A9D4
	v_fma_f32 v72, v72, s74, -v27                              // 000000006400: D1CB0048 846C9548
	v_fma_f32 v73, v73, s74, -v27                              // 000000006408: D1CB0049 846C9549
	v_fma_f32 v74, v74, s74, -v27                              // 000000006410: D1CB004A 846C954A
	v_fma_f32 v75, v75, s74, -v27                              // 000000006418: D1CB004B 846C954B
	v_fma_f32 v76, v76, s74, -v27                              // 000000006420: D1CB004C 846C954C
	v_fma_f32 v77, v77, s74, -v27                              // 000000006428: D1CB004D 846C954D
	v_fma_f32 v78, v78, s74, -v27                              // 000000006430: D1CB004E 846C954E
	v_mfma_f32_32x32x16_fp8_fp8 v[144:159], v[214:215], v[86:87], v[144:159]// 000000006438: D3F70090 0642ADD6
	v_fma_f32 v79, v79, s74, -v27                              // 000000006440: D1CB004F 846C954F
	v_exp_f32_e32 v48, v48                                     // 000000006448: 7E604130
	v_exp_f32_e32 v49, v49                                     // 00000000644C: 7E624131
	v_mfma_f32_32x32x16_fp8_fp8 v[160:175], v[216:217], v[80:81], v[160:175]// 000000006450: D3F700A0 0682A1D8
	v_exp_f32_e32 v50, v50                                     // 000000006458: 7E644132
	v_exp_f32_e32 v51, v51                                     // 00000000645C: 7E664133
	v_mfma_f32_32x32x16_fp8_fp8 v[160:175], v[218:219], v[82:83], v[160:175]// 000000006460: D3F700A0 0682A5DA
	v_exp_f32_e32 v52, v52                                     // 000000006468: 7E684134
	v_exp_f32_e32 v53, v53                                     // 00000000646C: 7E6A4135
	v_mfma_f32_32x32x16_fp8_fp8 v[160:175], v[220:221], v[84:85], v[160:175]// 000000006470: D3F700A0 0682A9DC
	v_exp_f32_e32 v54, v54                                     // 000000006478: 7E6C4136
	v_exp_f32_e32 v55, v55                                     // 00000000647C: 7E6E4137
	v_mfma_f32_32x32x16_fp8_fp8 v[160:175], v[222:223], v[86:87], v[160:175]// 000000006480: D3F700A0 0682ADDE
	s_waitcnt vmcnt(8)                                         // 000000006488: BF8C0F78
	s_barrier                                                  // 00000000648C: BF8A0000
	ds_read_b128 v[192:195], v12 offset:8704                   // 000000006490: D9FE2200 C000000C
	ds_read_b128 v[196:199], v12 offset:8736                   // 000000006498: D9FE2220 C400000C
	ds_read_b128 v[200:203], v12 offset:8768                   // 0000000064A0: D9FE2240 C800000C
	ds_read_b128 v[204:207], v12 offset:8800                   // 0000000064A8: D9FE2260 CC00000C
	s_nop 15                                                   // 0000000064B0: BF80000F
	s_nop 15                                                   // 0000000064B4: BF80000F
	s_nop 10                                                   // 0000000064B8: BF80000A
	buffer_load_dword v228, v8, s[16:19], s32 offen            // 0000000064BC: E0501000 2004E408
	ds_read_b128 v[208:211], v12 offset:13056                  // 0000000064C4: D9FE3300 D000000C
	ds_read_b128 v[212:215], v12 offset:13088                  // 0000000064CC: D9FE3320 D400000C
	buffer_load_dword v229, v9, s[16:19], s32 offen            // 0000000064D4: E0501000 2004E509
	ds_read_b128 v[216:219], v12 offset:13120                  // 0000000064DC: D9FE3340 D800000C
	ds_read_b128 v[220:223], v12 offset:13152                  // 0000000064E4: D9FE3360 DC00000C
	buffer_load_dword v230, v10, s[16:19], s32 offen           // 0000000064EC: E0501000 2004E60A
	buffer_load_dword v231, v11, s[16:19], s32 offen           // 0000000064F4: E0501000 2004E70B
	s_add_i32 s32, s65, s32                                    // 0000000064FC: 81202041
	s_add_u32 s34, 0xc0, s63                                   // 000000006500: 80223FFF 000000C0
	s_nop 0                                                    // 000000006508: BF800000
	s_cmp_lt_u32 s34, s62                                      // 00000000650C: BF0A3E22
	s_cselect_b32 s65, s65, 0                                  // 000000006510: 85418041
	s_add_i32 s72, s72, s73                                    // 000000006514: 81484948
	s_addk_i32 s63, 0x40                                       // 000000006518: B73F0040
	s_cmp_lt_i32 s63, s62                                      // 00000000651C: BF043E3F
	s_cbranch_scc0 label_1082                                  // 000000006520: BF8405F9
	s_branch label_0491                                        // 000000006524: BF82FA07

0000000000006528 <label_0A8A>:
	s_nop 0                                                    // 000000006528: BF800000
	s_setprio 1                                                // 00000000652C: BF8F0001
	s_barrier                                                  // 000000006530: BF8A0000

0000000000006534 <label_0A8D>:
	s_barrier                                                  // 000000006534: BF8A0000
	buffer_load_dword v228, v8, s[16:19], s32 offen            // 000000006538: E0501000 2004E408
	ds_read_b128 v[192:195], v12 offset:8704                   // 000000006540: D9FE2200 C000000C
	ds_read_b128 v[196:199], v12 offset:8736                   // 000000006548: D9FE2220 C400000C
	buffer_load_dword v229, v9, s[16:19], s32 offen            // 000000006550: E0501000 2004E509
	ds_read_b128 v[200:203], v12 offset:8768                   // 000000006558: D9FE2240 C800000C
	ds_read_b128 v[204:207], v12 offset:8800                   // 000000006560: D9FE2260 CC00000C
	buffer_load_dword v230, v10, s[16:19], s32 offen           // 000000006568: E0501000 2004E60A
	ds_read_b128 v[208:211], v12 offset:13056                  // 000000006570: D9FE3300 D000000C
	ds_read_b128 v[212:215], v12 offset:13088                  // 000000006578: D9FE3320 D400000C
	buffer_load_dword v231, v11, s[16:19], s32 offen           // 000000006580: E0501000 2004E70B
	ds_read_b128 v[216:219], v12 offset:13120                  // 000000006588: D9FE3340 D800000C
	ds_read_b128 v[220:223], v12 offset:13152                  // 000000006590: D9FE3360 DC00000C
	s_add_i32 s32, s65, s32                                    // 000000006598: 81202041
	s_add_u32 s34, 0x80, s63                                   // 00000000659C: 80223FFF 00000080
	s_nop 0                                                    // 0000000065A4: BF800000
	s_cmp_lt_u32 s34, s62                                      // 0000000065A8: BF0A3E22
	s_cselect_b32 s65, s65, 0                                  // 0000000065AC: 85418041
	s_waitcnt vmcnt(8) lgkmcnt(0)                              // 0000000065B0: BF8C0078
	s_barrier                                                  // 0000000065B4: BF8A0000
	v_perm_b32 v16, v225, v224, s69                            // 0000000065B8: D1ED0010 0117C1E1
	v_perm_b32 v17, v225, v224, s70                            // 0000000065C0: D1ED0011 011BC1E1
	v_perm_b32 v18, v227, v226, s69                            // 0000000065C8: D1ED0012 0117C5E3
	v_perm_b32 v19, v227, v226, s70                            // 0000000065D0: D1ED0013 011BC5E3
	v_perm_b32 v232, v18, v16, s68                             // 0000000065D8: D1ED00E8 01122112
	v_perm_b32 v233, v18, v16, s67                             // 0000000065E0: D1ED00E9 010E2112
	v_perm_b32 v234, v19, v17, s68                             // 0000000065E8: D1ED00EA 01122313
	v_perm_b32 v235, v19, v17, s67                             // 0000000065F0: D1ED00EB 010E2313
	ds_write_b32 v14, v232 offset:17408                        // 0000000065F8: D81A4400 0000E80E
	ds_write_b32 v14, v233 offset:19488                        // 000000006600: D81A4C20 0000E90E
	ds_write_b32 v14, v234 offset:21568                        // 000000006608: D81A5440 0000EA0E
	ds_write_b32 v14, v235 offset:23648                        // 000000006610: D81A5C60 0000EB0E
	s_barrier                                                  // 000000006618: BF8A0000
	v_mfma_f32_32x32x16_fp8_fp8 v[80:95], v[192:193], v[176:177], 0// 00000000661C: D3F70050 020361C0
	v_exp_f32_e32 v56, v56                                     // 000000006624: 7E704138
	v_exp_f32_e32 v57, v57                                     // 000000006628: 7E724139
	v_mfma_f32_32x32x16_fp8_fp8 v[80:95], v[194:195], v[178:179], v[80:95]// 00000000662C: D3F70050 054365C2
	v_exp_f32_e32 v58, v58                                     // 000000006634: 7E74413A
	v_exp_f32_e32 v59, v59                                     // 000000006638: 7E76413B
	v_mfma_f32_32x32x16_fp8_fp8 v[80:95], v[196:197], v[180:181], v[80:95]// 00000000663C: D3F70050 054369C4
	v_exp_f32_e32 v60, v60                                     // 000000006644: 7E78413C
	v_exp_f32_e32 v61, v61                                     // 000000006648: 7E7A413D
	v_mfma_f32_32x32x16_fp8_fp8 v[80:95], v[198:199], v[182:183], v[80:95]// 00000000664C: D3F70050 05436DC6
	s_waitcnt lgkmcnt(0)                                       // 000000006654: BF8CC07F
	s_barrier                                                  // 000000006658: BF8A0000
	v_mfma_f32_32x32x16_fp8_fp8 v[80:95], v[200:201], v[184:185], v[80:95]// 00000000665C: D3F70050 054371C8
	v_exp_f32_e32 v62, v62                                     // 000000006664: 7E7C413E
	v_exp_f32_e32 v63, v63                                     // 000000006668: 7E7E413F
	v_mfma_f32_32x32x16_fp8_fp8 v[80:95], v[202:203], v[186:187], v[80:95]// 00000000666C: D3F70050 054375CA
	v_exp_f32_e32 v64, v64                                     // 000000006674: 7E804140
	v_exp_f32_e32 v65, v65                                     // 000000006678: 7E824141
	v_mfma_f32_32x32x16_fp8_fp8 v[80:95], v[204:205], v[188:189], v[80:95]// 00000000667C: D3F70050 054379CC
	v_exp_f32_e32 v66, v66                                     // 000000006684: 7E844142
	v_exp_f32_e32 v67, v67                                     // 000000006688: 7E864143
	v_mfma_f32_32x32x16_fp8_fp8 v[80:95], v[206:207], v[190:191], v[80:95]// 00000000668C: D3F70050 05437DCE
	v_exp_f32_e32 v68, v68                                     // 000000006694: 7E884144
	v_exp_f32_e32 v69, v69                                     // 000000006698: 7E8A4145
	v_mfma_f32_32x32x16_fp8_fp8 v[96:111], v[208:209], v[176:177], 0// 00000000669C: D3F70060 020361D0
	v_exp_f32_e32 v70, v70                                     // 0000000066A4: 7E8C4146
	v_exp_f32_e32 v71, v71                                     // 0000000066A8: 7E8E4147
	v_mfma_f32_32x32x16_fp8_fp8 v[96:111], v[210:211], v[178:179], v[96:111]// 0000000066AC: D3F70060 058365D2
	v_exp_f32_e32 v72, v72                                     // 0000000066B4: 7E904148
	v_exp_f32_e32 v73, v73                                     // 0000000066B8: 7E924149
	v_mfma_f32_32x32x16_fp8_fp8 v[96:111], v[212:213], v[180:181], v[96:111]// 0000000066BC: D3F70060 058369D4
	v_exp_f32_e32 v74, v74                                     // 0000000066C4: 7E94414A
	v_exp_f32_e32 v75, v75                                     // 0000000066C8: 7E96414B
	v_mfma_f32_32x32x16_fp8_fp8 v[96:111], v[214:215], v[182:183], v[96:111]// 0000000066CC: D3F70060 05836DD6
	v_exp_f32_e32 v76, v76                                     // 0000000066D4: 7E98414C
	v_exp_f32_e32 v77, v77                                     // 0000000066D8: 7E9A414D
	v_mfma_f32_32x32x16_fp8_fp8 v[96:111], v[216:217], v[184:185], v[96:111]// 0000000066DC: D3F70060 058371D8
	v_exp_f32_e32 v78, v78                                     // 0000000066E4: 7E9C414E
	v_exp_f32_e32 v79, v79                                     // 0000000066E8: 7E9E414F
	v_mfma_f32_32x32x16_fp8_fp8 v[96:111], v[218:219], v[186:187], v[96:111]// 0000000066EC: D3F70060 058375DA
	v_mul_f32_e32 v22, v20, v22                                // 0000000066F4: 0A2C2D14
	v_add_f32_e32 v38, v49, v48                                // 0000000066F8: 024C6131
	v_add_f32_e32 v38, v50, v38                                // 0000000066FC: 024C4D32
	v_add_f32_e32 v38, v51, v38                                // 000000006700: 024C4D33
	v_add_f32_e32 v38, v52, v38                                // 000000006704: 024C4D34
	v_add_f32_e32 v38, v53, v38                                // 000000006708: 024C4D35
	v_add_f32_e32 v38, v54, v38                                // 00000000670C: 024C4D36
	v_mfma_f32_32x32x16_fp8_fp8 v[96:111], v[220:221], v[188:189], v[96:111]// 000000006710: D3F70060 058379DC
	v_add_f32_e32 v38, v55, v38                                // 000000006718: 024C4D37
	v_add_f32_e32 v38, v56, v38                                // 00000000671C: 024C4D38
	v_add_f32_e32 v38, v57, v38                                // 000000006720: 024C4D39
	v_add_f32_e32 v38, v58, v38                                // 000000006724: 024C4D3A
	v_add_f32_e32 v38, v59, v38                                // 000000006728: 024C4D3B
	v_add_f32_e32 v38, v60, v38                                // 00000000672C: 024C4D3C
	v_add_f32_e32 v38, v61, v38                                // 000000006730: 024C4D3D
	v_mfma_f32_32x32x16_fp8_fp8 v[96:111], v[222:223], v[190:191], v[96:111]// 000000006734: D3F70060 05837DDE
	v_add_f32_e32 v38, v62, v38                                // 00000000673C: 024C4D3E
	v_add_f32_e32 v38, v63, v38                                // 000000006740: 024C4D3F
	v_add_f32_e32 v38, v64, v38                                // 000000006744: 024C4D40
	v_add_f32_e32 v38, v65, v38                                // 000000006748: 024C4D41
	v_add_f32_e32 v38, v66, v38                                // 00000000674C: 024C4D42
	v_add_f32_e32 v38, v67, v38                                // 000000006750: 024C4D43
	v_add_f32_e32 v38, v68, v38                                // 000000006754: 024C4D44
	v_add_f32_e32 v38, v69, v38                                // 000000006758: 024C4D45
	v_add_f32_e32 v38, v70, v38                                // 00000000675C: 024C4D46
	v_add_f32_e32 v38, v71, v38                                // 000000006760: 024C4D47
	v_add_f32_e32 v38, v72, v38                                // 000000006764: 024C4D48
	v_add_f32_e32 v38, v73, v38                                // 000000006768: 024C4D49
	v_add_f32_e32 v38, v74, v38                                // 00000000676C: 024C4D4A
	v_add_f32_e32 v38, v75, v38                                // 000000006770: 024C4D4B
	v_add_f32_e32 v38, v76, v38                                // 000000006774: 024C4D4C
	v_add_f32_e32 v38, v77, v38                                // 000000006778: 024C4D4D
	v_add_f32_e32 v38, v78, v38                                // 00000000677C: 024C4D4E
	v_add_f32_e32 v38, v79, v38                                // 000000006780: 024C4D4F
	v_add_f32_e32 v22, v38, v22                                // 000000006784: 022C2D26
	v_cvt_pk_fp8_f32 v48, v48, v49                             // 000000006788: D2A20030 00026330
	v_cvt_pk_fp8_f32 v48, v50, v51 op_sel:[0,0,1]              // 000000006790: D2A24030 00026732
	v_cvt_pk_fp8_f32 v49, v52, v53                             // 000000006798: D2A20031 00026B34
	v_cvt_pk_fp8_f32 v49, v54, v55 op_sel:[0,0,1]              // 0000000067A0: D2A24031 00026F36
	v_cvt_pk_fp8_f32 v50, v56, v57                             // 0000000067A8: D2A20032 00027338
	v_cvt_pk_fp8_f32 v50, v58, v59 op_sel:[0,0,1]              // 0000000067B0: D2A24032 0002773A
	v_cvt_pk_fp8_f32 v51, v60, v61                             // 0000000067B8: D2A20033 00027B3C
	v_cvt_pk_fp8_f32 v51, v62, v63 op_sel:[0,0,1]              // 0000000067C0: D2A24033 00027F3E
	v_cvt_pk_fp8_f32 v52, v64, v65                             // 0000000067C8: D2A20034 00028340
	v_cvt_pk_fp8_f32 v52, v66, v67 op_sel:[0,0,1]              // 0000000067D0: D2A24034 00028742
	v_cvt_pk_fp8_f32 v53, v68, v69                             // 0000000067D8: D2A20035 00028B44
	v_cvt_pk_fp8_f32 v53, v70, v71 op_sel:[0,0,1]              // 0000000067E0: D2A24035 00028F46
	v_cvt_pk_fp8_f32 v54, v72, v73                             // 0000000067E8: D2A20036 00029348
	v_cvt_pk_fp8_f32 v54, v74, v75 op_sel:[0,0,1]              // 0000000067F0: D2A24036 0002974A
	v_cvt_pk_fp8_f32 v55, v76, v77                             // 0000000067F8: D2A20037 00029B4C
	v_cvt_pk_fp8_f32 v55, v78, v79 op_sel:[0,0,1]              // 000000006800: D2A24037 00029F4E
	s_nop 0                                                    // 000000006808: BF800000
	v_mov_b32_e32 v21, v20                                     // 00000000680C: 7E2A0314
	v_mul_f32_e32 v112, v20, v112                              // 000000006810: 0AE0E114
	v_mul_f32_e32 v113, v20, v113                              // 000000006814: 0AE2E314
	v_pk_mul_f32 v[114:115], v[20:21], v[114:115]              // 000000006818: D3B14072 1802E514
	v_pk_mul_f32 v[116:117], v[20:21], v[116:117]              // 000000006820: D3B14074 1802E914
	v_pk_mul_f32 v[118:119], v[20:21], v[118:119]              // 000000006828: D3B14076 1802ED14
	v_pk_mul_f32 v[120:121], v[20:21], v[120:121]              // 000000006830: D3B14078 1802F114
	v_pk_mul_f32 v[122:123], v[20:21], v[122:123]              // 000000006838: D3B1407A 1802F514
	v_pk_mul_f32 v[124:125], v[20:21], v[124:125]              // 000000006840: D3B1407C 1802F914
	v_pk_mul_f32 v[126:127], v[20:21], v[126:127]              // 000000006848: D3B1407E 1802FD14
	v_pk_mul_f32 v[128:129], v[20:21], v[128:129]              // 000000006850: D3B14080 18030114
	v_pk_mul_f32 v[130:131], v[20:21], v[130:131]              // 000000006858: D3B14082 18030514
	v_pk_mul_f32 v[132:133], v[20:21], v[132:133]              // 000000006860: D3B14084 18030914
	v_pk_mul_f32 v[134:135], v[20:21], v[134:135]              // 000000006868: D3B14086 18030D14
	v_pk_mul_f32 v[136:137], v[20:21], v[136:137]              // 000000006870: D3B14088 18031114
	v_pk_mul_f32 v[138:139], v[20:21], v[138:139]              // 000000006878: D3B1408A 18031514
	v_pk_mul_f32 v[140:141], v[20:21], v[140:141]              // 000000006880: D3B1408C 18031914
	v_pk_mul_f32 v[142:143], v[20:21], v[142:143]              // 000000006888: D3B1408E 18031D14
	v_pk_mul_f32 v[144:145], v[20:21], v[144:145]              // 000000006890: D3B14090 18032114
	v_pk_mul_f32 v[146:147], v[20:21], v[146:147]              // 000000006898: D3B14092 18032514
	v_pk_mul_f32 v[148:149], v[20:21], v[148:149]              // 0000000068A0: D3B14094 18032914
	v_pk_mul_f32 v[150:151], v[20:21], v[150:151]              // 0000000068A8: D3B14096 18032D14
	v_pk_mul_f32 v[152:153], v[20:21], v[152:153]              // 0000000068B0: D3B14098 18033114
	v_pk_mul_f32 v[154:155], v[20:21], v[154:155]              // 0000000068B8: D3B1409A 18033514
	v_pk_mul_f32 v[156:157], v[20:21], v[156:157]              // 0000000068C0: D3B1409C 18033914
	v_pk_mul_f32 v[158:159], v[20:21], v[158:159]              // 0000000068C8: D3B1409E 18033D14
	v_pk_mul_f32 v[160:161], v[20:21], v[160:161]              // 0000000068D0: D3B140A0 18034114
	v_pk_mul_f32 v[162:163], v[20:21], v[162:163]              // 0000000068D8: D3B140A2 18034514
	v_pk_mul_f32 v[164:165], v[20:21], v[164:165]              // 0000000068E0: D3B140A4 18034914
	v_pk_mul_f32 v[166:167], v[20:21], v[166:167]              // 0000000068E8: D3B140A6 18034D14
	v_pk_mul_f32 v[168:169], v[20:21], v[168:169]              // 0000000068F0: D3B140A8 18035114
	v_pk_mul_f32 v[170:171], v[20:21], v[170:171]              // 0000000068F8: D3B140AA 18035514
	v_pk_mul_f32 v[172:173], v[20:21], v[172:173]              // 000000006900: D3B140AC 18035914
	v_pk_mul_f32 v[174:175], v[20:21], v[174:175]              // 000000006908: D3B140AE 18035D14
	s_barrier                                                  // 000000006910: BF8A0000
	s_nop 0                                                    // 000000006914: BF800000
	s_cmp_lt_i32 s72, s71                                      // 000000006918: BF044748
	s_cbranch_scc1 label_0C94                                  // 00000000691C: BF85010C
	s_sub_i32 s34, s71, s72                                    // 000000006920: 81A24847
	s_sub_i32 s35, s7, s29                                     // 000000006924: 81A31D07
	s_and_b32 s35, s35, 63                                     // 000000006928: 8623BF23
	s_add_i32 s34, s34, s35                                    // 00000000692C: 81222322
	v_add_i32 v16, v29, s34                                    // 000000006930: D29C0010 0000451D
	v_cmp_lt_i32_e64 s[50:51], v16, 0                          // 000000006938: D0C10032 00010110
	v_cmp_lt_i32_e64 s[52:53], v16, 1                          // 000000006940: D0C10034 00010310
	v_cndmask_b32_e64 v80, v80, v31, s[50:51]                  // 000000006948: D1000050 00CA3F50
	v_cndmask_b32_e64 v81, v81, v31, s[52:53]                  // 000000006950: D1000051 00D23F51
	v_cmp_lt_i32_e64 s[50:51], v16, 2                          // 000000006958: D0C10032 00010510
	v_cmp_lt_i32_e64 s[52:53], v16, 3                          // 000000006960: D0C10034 00010710
	v_cndmask_b32_e64 v82, v82, v31, s[50:51]                  // 000000006968: D1000052 00CA3F52
	v_cndmask_b32_e64 v83, v83, v31, s[52:53]                  // 000000006970: D1000053 00D23F53
	v_cmp_lt_i32_e64 s[50:51], v16, 8                          // 000000006978: D0C10032 00011110
	v_cmp_lt_i32_e64 s[52:53], v16, 9                          // 000000006980: D0C10034 00011310
	v_cndmask_b32_e64 v84, v84, v31, s[50:51]                  // 000000006988: D1000054 00CA3F54
	v_cndmask_b32_e64 v85, v85, v31, s[52:53]                  // 000000006990: D1000055 00D23F55
	v_cmp_lt_i32_e64 s[50:51], v16, 10                         // 000000006998: D0C10032 00011510
	v_cmp_lt_i32_e64 s[52:53], v16, 11                         // 0000000069A0: D0C10034 00011710
	v_cndmask_b32_e64 v86, v86, v31, s[50:51]                  // 0000000069A8: D1000056 00CA3F56
	v_cndmask_b32_e64 v87, v87, v31, s[52:53]                  // 0000000069B0: D1000057 00D23F57
	v_cmp_lt_i32_e64 s[50:51], v16, 16                         // 0000000069B8: D0C10032 00012110
	v_cmp_lt_i32_e64 s[52:53], v16, 17                         // 0000000069C0: D0C10034 00012310
	v_cndmask_b32_e64 v88, v88, v31, s[50:51]                  // 0000000069C8: D1000058 00CA3F58
	v_cndmask_b32_e64 v89, v89, v31, s[52:53]                  // 0000000069D0: D1000059 00D23F59
	v_cmp_lt_i32_e64 s[50:51], v16, 18                         // 0000000069D8: D0C10032 00012510
	v_cmp_lt_i32_e64 s[52:53], v16, 19                         // 0000000069E0: D0C10034 00012710
	v_cndmask_b32_e64 v90, v90, v31, s[50:51]                  // 0000000069E8: D100005A 00CA3F5A
	v_cndmask_b32_e64 v91, v91, v31, s[52:53]                  // 0000000069F0: D100005B 00D23F5B
	v_cmp_lt_i32_e64 s[50:51], v16, 24                         // 0000000069F8: D0C10032 00013110
	v_cmp_lt_i32_e64 s[52:53], v16, 25                         // 000000006A00: D0C10034 00013310
	v_cndmask_b32_e64 v92, v92, v31, s[50:51]                  // 000000006A08: D100005C 00CA3F5C
	v_cndmask_b32_e64 v93, v93, v31, s[52:53]                  // 000000006A10: D100005D 00D23F5D
	v_cmp_lt_i32_e64 s[50:51], v16, 26                         // 000000006A18: D0C10032 00013510
	v_cmp_lt_i32_e64 s[52:53], v16, 27                         // 000000006A20: D0C10034 00013710
	v_cndmask_b32_e64 v94, v94, v31, s[50:51]                  // 000000006A28: D100005E 00CA3F5E
	v_cndmask_b32_e64 v95, v95, v31, s[52:53]                  // 000000006A30: D100005F 00D23F5F
	v_cmp_lt_i32_e64 s[50:51], v16, 32                         // 000000006A38: D0C10032 00014110
	v_cmp_lt_i32_e64 s[52:53], v16, 33                         // 000000006A40: D0C10034 00014310
	v_cndmask_b32_e64 v96, v96, v31, s[50:51]                  // 000000006A48: D1000060 00CA3F60
	v_cndmask_b32_e64 v97, v97, v31, s[52:53]                  // 000000006A50: D1000061 00D23F61
	v_cmp_lt_i32_e64 s[50:51], v16, 34                         // 000000006A58: D0C10032 00014510
	v_cmp_lt_i32_e64 s[52:53], v16, 35                         // 000000006A60: D0C10034 00014710
	v_cndmask_b32_e64 v98, v98, v31, s[50:51]                  // 000000006A68: D1000062 00CA3F62
	v_cndmask_b32_e64 v99, v99, v31, s[52:53]                  // 000000006A70: D1000063 00D23F63
	v_cmp_lt_i32_e64 s[50:51], v16, 40                         // 000000006A78: D0C10032 00015110
	v_cmp_lt_i32_e64 s[52:53], v16, 41                         // 000000006A80: D0C10034 00015310
	v_cndmask_b32_e64 v100, v100, v31, s[50:51]                // 000000006A88: D1000064 00CA3F64
	v_cndmask_b32_e64 v101, v101, v31, s[52:53]                // 000000006A90: D1000065 00D23F65
	v_cmp_lt_i32_e64 s[50:51], v16, 42                         // 000000006A98: D0C10032 00015510
	v_cmp_lt_i32_e64 s[52:53], v16, 43                         // 000000006AA0: D0C10034 00015710
	v_cndmask_b32_e64 v102, v102, v31, s[50:51]                // 000000006AA8: D1000066 00CA3F66
	v_cndmask_b32_e64 v103, v103, v31, s[52:53]                // 000000006AB0: D1000067 00D23F67
	v_cmp_lt_i32_e64 s[50:51], v16, 48                         // 000000006AB8: D0C10032 00016110
	v_cmp_lt_i32_e64 s[52:53], v16, 49                         // 000000006AC0: D0C10034 00016310
	v_cndmask_b32_e64 v104, v104, v31, s[50:51]                // 000000006AC8: D1000068 00CA3F68
	v_cndmask_b32_e64 v105, v105, v31, s[52:53]                // 000000006AD0: D1000069 00D23F69
	v_cmp_lt_i32_e64 s[50:51], v16, 50                         // 000000006AD8: D0C10032 00016510
	v_cmp_lt_i32_e64 s[52:53], v16, 51                         // 000000006AE0: D0C10034 00016710
	v_cndmask_b32_e64 v106, v106, v31, s[50:51]                // 000000006AE8: D100006A 00CA3F6A
	v_cndmask_b32_e64 v107, v107, v31, s[52:53]                // 000000006AF0: D100006B 00D23F6B
	v_cmp_lt_i32_e64 s[50:51], v16, 56                         // 000000006AF8: D0C10032 00017110
	v_cmp_lt_i32_e64 s[52:53], v16, 57                         // 000000006B00: D0C10034 00017310
	v_cndmask_b32_e64 v108, v108, v31, s[50:51]                // 000000006B08: D100006C 00CA3F6C
	v_cndmask_b32_e64 v109, v109, v31, s[52:53]                // 000000006B10: D100006D 00D23F6D
	v_cmp_lt_i32_e64 s[50:51], v16, 58                         // 000000006B18: D0C10032 00017510
	v_cmp_lt_i32_e64 s[52:53], v16, 59                         // 000000006B20: D0C10034 00017710
	v_cndmask_b32_e64 v110, v110, v31, s[50:51]                // 000000006B28: D100006E 00CA3F6E
	v_cndmask_b32_e64 v111, v111, v31, s[52:53]                // 000000006B30: D100006F 00D23F6F
	s_nop 0                                                    // 000000006B38: BF800000
	s_cmp_lt_i32 s72, s76                                      // 000000006B3C: BF044C48
	s_cbranch_scc1 label_0C94                                  // 000000006B40: BF850083
	s_sub_i32 s34, s7, s72                                     // 000000006B44: 81A24807
	v_sub_i32 v16, s34, v30                                    // 000000006B48: D29D0010 00023C22
	v_cmp_lt_i32_e64 s[50:51], 0, v16                          // 000000006B50: D0C10032 00022080
	v_cmp_lt_i32_e64 s[52:53], 1, v16                          // 000000006B58: D0C10034 00022081
	v_cndmask_b32_e64 v80, v31, v80, s[50:51]                  // 000000006B60: D1000050 00CAA11F
	v_cndmask_b32_e64 v81, v31, v81, s[52:53]                  // 000000006B68: D1000051 00D2A31F
	v_cmp_lt_i32_e64 s[50:51], 2, v16                          // 000000006B70: D0C10032 00022082
	v_cmp_lt_i32_e64 s[52:53], 3, v16                          // 000000006B78: D0C10034 00022083
	v_cndmask_b32_e64 v82, v31, v82, s[50:51]                  // 000000006B80: D1000052 00CAA51F
	v_cndmask_b32_e64 v83, v31, v83, s[52:53]                  // 000000006B88: D1000053 00D2A71F
	v_cmp_lt_i32_e64 s[50:51], 8, v16                          // 000000006B90: D0C10032 00022088
	v_cmp_lt_i32_e64 s[52:53], 9, v16                          // 000000006B98: D0C10034 00022089
	v_cndmask_b32_e64 v84, v31, v84, s[50:51]                  // 000000006BA0: D1000054 00CAA91F
	v_cndmask_b32_e64 v85, v31, v85, s[52:53]                  // 000000006BA8: D1000055 00D2AB1F
	v_cmp_lt_i32_e64 s[50:51], 10, v16                         // 000000006BB0: D0C10032 0002208A
	v_cmp_lt_i32_e64 s[52:53], 11, v16                         // 000000006BB8: D0C10034 0002208B
	v_cndmask_b32_e64 v86, v31, v86, s[50:51]                  // 000000006BC0: D1000056 00CAAD1F
	v_cndmask_b32_e64 v87, v31, v87, s[52:53]                  // 000000006BC8: D1000057 00D2AF1F
	v_cmp_lt_i32_e64 s[50:51], 16, v16                         // 000000006BD0: D0C10032 00022090
	v_cmp_lt_i32_e64 s[52:53], 17, v16                         // 000000006BD8: D0C10034 00022091
	v_cndmask_b32_e64 v88, v31, v88, s[50:51]                  // 000000006BE0: D1000058 00CAB11F
	v_cndmask_b32_e64 v89, v31, v89, s[52:53]                  // 000000006BE8: D1000059 00D2B31F
	v_cmp_lt_i32_e64 s[50:51], 18, v16                         // 000000006BF0: D0C10032 00022092
	v_cmp_lt_i32_e64 s[52:53], 19, v16                         // 000000006BF8: D0C10034 00022093
	v_cndmask_b32_e64 v90, v31, v90, s[50:51]                  // 000000006C00: D100005A 00CAB51F
	v_cndmask_b32_e64 v91, v31, v91, s[52:53]                  // 000000006C08: D100005B 00D2B71F
	v_cmp_lt_i32_e64 s[50:51], 24, v16                         // 000000006C10: D0C10032 00022098
	v_cmp_lt_i32_e64 s[52:53], 25, v16                         // 000000006C18: D0C10034 00022099
	v_cndmask_b32_e64 v92, v31, v92, s[50:51]                  // 000000006C20: D100005C 00CAB91F
	v_cndmask_b32_e64 v93, v31, v93, s[52:53]                  // 000000006C28: D100005D 00D2BB1F
	v_cmp_lt_i32_e64 s[50:51], 26, v16                         // 000000006C30: D0C10032 0002209A
	v_cmp_lt_i32_e64 s[52:53], 27, v16                         // 000000006C38: D0C10034 0002209B
	v_cndmask_b32_e64 v94, v31, v94, s[50:51]                  // 000000006C40: D100005E 00CABD1F
	v_cndmask_b32_e64 v95, v31, v95, s[52:53]                  // 000000006C48: D100005F 00D2BF1F
	v_cmp_lt_i32_e64 s[50:51], 32, v16                         // 000000006C50: D0C10032 000220A0
	v_cmp_lt_i32_e64 s[52:53], 33, v16                         // 000000006C58: D0C10034 000220A1
	v_cndmask_b32_e64 v96, v31, v96, s[50:51]                  // 000000006C60: D1000060 00CAC11F
	v_cndmask_b32_e64 v97, v31, v97, s[52:53]                  // 000000006C68: D1000061 00D2C31F
	v_cmp_lt_i32_e64 s[50:51], 34, v16                         // 000000006C70: D0C10032 000220A2
	v_cmp_lt_i32_e64 s[52:53], 35, v16                         // 000000006C78: D0C10034 000220A3
	v_cndmask_b32_e64 v98, v31, v98, s[50:51]                  // 000000006C80: D1000062 00CAC51F
	v_cndmask_b32_e64 v99, v31, v99, s[52:53]                  // 000000006C88: D1000063 00D2C71F
	v_cmp_lt_i32_e64 s[50:51], 40, v16                         // 000000006C90: D0C10032 000220A8
	v_cmp_lt_i32_e64 s[52:53], 41, v16                         // 000000006C98: D0C10034 000220A9
	v_cndmask_b32_e64 v100, v31, v100, s[50:51]                // 000000006CA0: D1000064 00CAC91F
	v_cndmask_b32_e64 v101, v31, v101, s[52:53]                // 000000006CA8: D1000065 00D2CB1F
	v_cmp_lt_i32_e64 s[50:51], 42, v16                         // 000000006CB0: D0C10032 000220AA
	v_cmp_lt_i32_e64 s[52:53], 43, v16                         // 000000006CB8: D0C10034 000220AB
	v_cndmask_b32_e64 v102, v31, v102, s[50:51]                // 000000006CC0: D1000066 00CACD1F
	v_cndmask_b32_e64 v103, v31, v103, s[52:53]                // 000000006CC8: D1000067 00D2CF1F
	v_cmp_lt_i32_e64 s[50:51], 48, v16                         // 000000006CD0: D0C10032 000220B0
	v_cmp_lt_i32_e64 s[52:53], 49, v16                         // 000000006CD8: D0C10034 000220B1
	v_cndmask_b32_e64 v104, v31, v104, s[50:51]                // 000000006CE0: D1000068 00CAD11F
	v_cndmask_b32_e64 v105, v31, v105, s[52:53]                // 000000006CE8: D1000069 00D2D31F
	v_cmp_lt_i32_e64 s[50:51], 50, v16                         // 000000006CF0: D0C10032 000220B2
	v_cmp_lt_i32_e64 s[52:53], 51, v16                         // 000000006CF8: D0C10034 000220B3
	v_cndmask_b32_e64 v106, v31, v106, s[50:51]                // 000000006D00: D100006A 00CAD51F
	v_cndmask_b32_e64 v107, v31, v107, s[52:53]                // 000000006D08: D100006B 00D2D71F
	v_cmp_lt_i32_e64 s[50:51], 56, v16                         // 000000006D10: D0C10032 000220B8
	v_cmp_lt_i32_e64 s[52:53], 57, v16                         // 000000006D18: D0C10034 000220B9
	v_cndmask_b32_e64 v108, v31, v108, s[50:51]                // 000000006D20: D100006C 00CAD91F
	v_cndmask_b32_e64 v109, v31, v109, s[52:53]                // 000000006D28: D100006D 00D2DB1F
	v_cmp_lt_i32_e64 s[50:51], 58, v16                         // 000000006D30: D0C10032 000220BA
	v_cmp_lt_i32_e64 s[52:53], 59, v16                         // 000000006D38: D0C10034 000220BB
	v_cndmask_b32_e64 v110, v31, v110, s[50:51]                // 000000006D40: D100006E 00CADD1F
	v_cndmask_b32_e64 v111, v31, v111, s[52:53]                // 000000006D48: D100006F 00D2DF1F

0000000000006d50 <label_0C94>:
	s_nop 0                                                    // 000000006D50: BF800000
	s_mov_b32 m0, s55                                          // 000000006D54: BEFC0037
	ds_read_b32 v192, v13 offset:17408                         // 000000006D58: D86C4400 C000000D
	ds_read_b32 v193, v13 offset:17664                         // 000000006D60: D86C4500 C100000D
	ds_read_b32 v194, v13 offset:17920                         // 000000006D68: D86C4600 C200000D
	ds_read_b32 v195, v13 offset:18176                         // 000000006D70: D86C4700 C300000D
	ds_read_b32 v196, v13 offset:18432                         // 000000006D78: D86C4800 C400000D
	ds_read_b32 v197, v13 offset:18688                         // 000000006D80: D86C4900 C500000D
	ds_read_b32 v198, v13 offset:18944                         // 000000006D88: D86C4A00 C600000D
	ds_read_b32 v199, v13 offset:19200                         // 000000006D90: D86C4B00 C700000D
	s_nop 15                                                   // 000000006D98: BF80000F
	s_nop 15                                                   // 000000006D9C: BF80000F
	buffer_load_dword v4, s[12:15], s57 offen lds              // 000000006DA0: E0511000 39030004
	s_add_u32 m0, 0x880, m0                                    // 000000006DA8: 807C7CFF 00000880
	ds_read_b32 v200, v13 offset:17440                         // 000000006DB0: D86C4420 C800000D
	ds_read_b32 v201, v13 offset:17696                         // 000000006DB8: D86C4520 C900000D
	ds_read_b32 v202, v13 offset:17952                         // 000000006DC0: D86C4620 CA00000D
	ds_read_b32 v203, v13 offset:18208                         // 000000006DC8: D86C4720 CB00000D
	buffer_load_dword v5, s[12:15], s57 offen lds              // 000000006DD0: E0511000 39030005
	s_add_u32 m0, 0x880, m0                                    // 000000006DD8: 807C7CFF 00000880
	ds_read_b32 v204, v13 offset:18464                         // 000000006DE0: D86C4820 CC00000D
	ds_read_b32 v205, v13 offset:18720                         // 000000006DE8: D86C4920 CD00000D
	ds_read_b32 v206, v13 offset:18976                         // 000000006DF0: D86C4A20 CE00000D
	ds_read_b32 v207, v13 offset:19232                         // 000000006DF8: D86C4B20 CF00000D
	buffer_load_dword v6, s[12:15], s57 offen lds              // 000000006E00: E0511000 39030006
	s_add_u32 m0, 0x880, m0                                    // 000000006E08: 807C7CFF 00000880
	ds_read_b32 v208, v13 offset:17472                         // 000000006E10: D86C4440 D000000D
	ds_read_b32 v209, v13 offset:17728                         // 000000006E18: D86C4540 D100000D
	ds_read_b32 v210, v13 offset:17984                         // 000000006E20: D86C4640 D200000D
	ds_read_b32 v211, v13 offset:18240                         // 000000006E28: D86C4740 D300000D
	buffer_load_dword v7, s[12:15], s57 offen lds              // 000000006E30: E0511000 39030007
	s_add_u32 m0, 0x880, m0                                    // 000000006E38: 807C7CFF 00000880
	ds_read_b32 v212, v13 offset:18496                         // 000000006E40: D86C4840 D400000D
	ds_read_b32 v213, v13 offset:18752                         // 000000006E48: D86C4940 D500000D
	ds_read_b32 v214, v13 offset:19008                         // 000000006E50: D86C4A40 D600000D
	ds_read_b32 v215, v13 offset:19264                         // 000000006E58: D86C4B40 D700000D
	ds_read_b32 v216, v13 offset:17504                         // 000000006E60: D86C4460 D800000D
	ds_read_b32 v217, v13 offset:17760                         // 000000006E68: D86C4560 D900000D
	ds_read_b32 v218, v13 offset:18016                         // 000000006E70: D86C4660 DA00000D
	ds_read_b32 v219, v13 offset:18272                         // 000000006E78: D86C4760 DB00000D
	ds_read_b32 v220, v13 offset:18528                         // 000000006E80: D86C4860 DC00000D
	ds_read_b32 v221, v13 offset:18784                         // 000000006E88: D86C4960 DD00000D
	ds_read_b32 v222, v13 offset:19040                         // 000000006E90: D86C4A60 DE00000D
	ds_read_b32 v223, v13 offset:19296                         // 000000006E98: D86C4B60 DF00000D
	s_add_i32 s57, s64, s57                                    // 000000006EA0: 81393940
	s_add_u32 s34, 0x100, s63                                  // 000000006EA4: 80223FFF 00000100
	s_cmp_lt_u32 s34, s62                                      // 000000006EAC: BF0A3E22
	s_cselect_b32 s64, s64, 0                                  // 000000006EB0: 85408040
	s_add_i32 s72, s72, s73                                    // 000000006EB4: 81484948
	s_addk_i32 s63, 0x40                                       // 000000006EB8: B73F0040
	s_cmp_lt_i32 s63, s62                                      // 000000006EBC: BF043E3F
	s_waitcnt vmcnt(8) lgkmcnt(0)                              // 000000006EC0: BF8C0078
	s_barrier                                                  // 000000006EC4: BF8A0000
	v_mfma_f32_32x32x16_fp8_fp8 v[112:127], v[192:193], v[48:49], v[112:127]// 000000006EC8: D3F70070 05C261C0
	v_max3_f32 v25, v80, v81, v28                              // 000000006ED0: D1D30019 0472A350
	v_max3_f32 v25, v82, v83, v25                              // 000000006ED8: D1D30019 0466A752
	v_max3_f32 v25, v84, v85, v25                              // 000000006EE0: D1D30019 0466AB54
	v_max3_f32 v25, v86, v87, v25                              // 000000006EE8: D1D30019 0466AF56
	v_max3_f32 v25, v88, v89, v25                              // 000000006EF0: D1D30019 0466B358
	v_max3_f32 v25, v90, v91, v25                              // 000000006EF8: D1D30019 0466B75A
	v_max3_f32 v25, v92, v93, v25                              // 000000006F00: D1D30019 0466BB5C
	v_mfma_f32_32x32x16_fp8_fp8 v[112:127], v[194:195], v[50:51], v[112:127]// 000000006F08: D3F70070 05C265C2
	v_max3_f32 v25, v94, v95, v25                              // 000000006F10: D1D30019 0466BF5E
	v_max3_f32 v25, v96, v97, v25                              // 000000006F18: D1D30019 0466C360
	v_max3_f32 v25, v98, v99, v25                              // 000000006F20: D1D30019 0466C762
	v_max3_f32 v25, v100, v101, v25                            // 000000006F28: D1D30019 0466CB64
	v_max3_f32 v25, v102, v103, v25                            // 000000006F30: D1D30019 0466CF66
	v_max3_f32 v25, v104, v105, v25                            // 000000006F38: D1D30019 0466D368
	v_max3_f32 v25, v106, v107, v25                            // 000000006F40: D1D30019 0466D76A
	v_mfma_f32_32x32x16_fp8_fp8 v[112:127], v[196:197], v[52:53], v[112:127]// 000000006F48: D3F70070 05C269C4
	v_max3_f32 v25, v108, v109, v25                            // 000000006F50: D1D30019 0466DB6C
	v_max3_f32 v25, v110, v111, v25                            // 000000006F58: D1D30019 0466DF6E
	ds_permute_b32 v24, v32, v25                               // 000000006F60: D87C0000 18001920
	v_mfma_f32_32x32x16_fp8_fp8 v[112:127], v[198:199], v[54:55], v[112:127]// 000000006F68: D3F70070 05C26DC6
	v_nop                                                      // 000000006F70: 7E000000
	s_nop 0                                                    // 000000006F74: BF800000
	v_mfma_f32_32x32x16_fp8_fp8 v[128:143], v[200:201], v[48:49], v[128:143]// 000000006F78: D3F70080 060261C8
	v_nop                                                      // 000000006F80: 7E000000
	v_mfma_f32_32x32x16_fp8_fp8 v[128:143], v[202:203], v[50:51], v[128:143]// 000000006F84: D3F70080 060265CA
	s_waitcnt lgkmcnt(0)                                       // 000000006F8C: BF8CC07F
	v_max_f32_e32 v25, v24, v25                                // 000000006F90: 16323318
	v_sub_f32_e32 v20, v28, v25                                // 000000006F94: 0428331C
	v_mov_b32_e32 v28, v25                                     // 000000006F98: 7E380319
	v_mul_f32_e32 v27, s74, v25                                // 000000006F9C: 0A36324A
	v_mul_f32_e32 v20, s74, v20                                // 000000006FA0: 0A28284A
	v_mfma_f32_32x32x16_fp8_fp8 v[128:143], v[204:205], v[52:53], v[128:143]// 000000006FA4: D3F70080 060269CC
	v_exp_f32_e32 v20, v20                                     // 000000006FAC: 7E284114
	v_fma_f32 v80, v80, s74, -v27                              // 000000006FB0: D1CB0050 846C9550
	v_fma_f32 v81, v81, s74, -v27                              // 000000006FB8: D1CB0051 846C9551
	v_fma_f32 v82, v82, s74, -v27                              // 000000006FC0: D1CB0052 846C9552
	v_mfma_f32_32x32x16_fp8_fp8 v[128:143], v[206:207], v[54:55], v[128:143]// 000000006FC8: D3F70080 06026DCE
	v_fma_f32 v83, v83, s74, -v27                              // 000000006FD0: D1CB0053 846C9553
	v_fma_f32 v84, v84, s74, -v27                              // 000000006FD8: D1CB0054 846C9554
	v_fma_f32 v85, v85, s74, -v27                              // 000000006FE0: D1CB0055 846C9555
	v_fma_f32 v86, v86, s74, -v27                              // 000000006FE8: D1CB0056 846C9556
	v_fma_f32 v87, v87, s74, -v27                              // 000000006FF0: D1CB0057 846C9557
	v_fma_f32 v88, v88, s74, -v27                              // 000000006FF8: D1CB0058 846C9558
	v_fma_f32 v89, v89, s74, -v27                              // 000000007000: D1CB0059 846C9559
	v_mfma_f32_32x32x16_fp8_fp8 v[144:159], v[208:209], v[48:49], v[144:159]// 000000007008: D3F70090 064261D0
	v_fma_f32 v90, v90, s74, -v27                              // 000000007010: D1CB005A 846C955A
	v_fma_f32 v91, v91, s74, -v27                              // 000000007018: D1CB005B 846C955B
	v_fma_f32 v92, v92, s74, -v27                              // 000000007020: D1CB005C 846C955C
	v_fma_f32 v93, v93, s74, -v27                              // 000000007028: D1CB005D 846C955D
	v_fma_f32 v94, v94, s74, -v27                              // 000000007030: D1CB005E 846C955E
	v_fma_f32 v95, v95, s74, -v27                              // 000000007038: D1CB005F 846C955F
	v_fma_f32 v96, v96, s74, -v27                              // 000000007040: D1CB0060 846C9560
	v_mfma_f32_32x32x16_fp8_fp8 v[144:159], v[210:211], v[50:51], v[144:159]// 000000007048: D3F70090 064265D2
	v_fma_f32 v97, v97, s74, -v27                              // 000000007050: D1CB0061 846C9561
	v_fma_f32 v98, v98, s74, -v27                              // 000000007058: D1CB0062 846C9562
	v_fma_f32 v99, v99, s74, -v27                              // 000000007060: D1CB0063 846C9563
	v_fma_f32 v100, v100, s74, -v27                            // 000000007068: D1CB0064 846C9564
	v_fma_f32 v101, v101, s74, -v27                            // 000000007070: D1CB0065 846C9565
	v_fma_f32 v102, v102, s74, -v27                            // 000000007078: D1CB0066 846C9566
	v_fma_f32 v103, v103, s74, -v27                            // 000000007080: D1CB0067 846C9567
	v_mfma_f32_32x32x16_fp8_fp8 v[144:159], v[212:213], v[52:53], v[144:159]// 000000007088: D3F70090 064269D4
	v_fma_f32 v104, v104, s74, -v27                            // 000000007090: D1CB0068 846C9568
	v_fma_f32 v105, v105, s74, -v27                            // 000000007098: D1CB0069 846C9569
	v_fma_f32 v106, v106, s74, -v27                            // 0000000070A0: D1CB006A 846C956A
	v_fma_f32 v107, v107, s74, -v27                            // 0000000070A8: D1CB006B 846C956B
	v_fma_f32 v108, v108, s74, -v27                            // 0000000070B0: D1CB006C 846C956C
	v_fma_f32 v109, v109, s74, -v27                            // 0000000070B8: D1CB006D 846C956D
	v_fma_f32 v110, v110, s74, -v27                            // 0000000070C0: D1CB006E 846C956E
	v_mfma_f32_32x32x16_fp8_fp8 v[144:159], v[214:215], v[54:55], v[144:159]// 0000000070C8: D3F70090 06426DD6
	v_fma_f32 v111, v111, s74, -v27                            // 0000000070D0: D1CB006F 846C956F
	v_exp_f32_e32 v80, v80                                     // 0000000070D8: 7EA04150
	v_exp_f32_e32 v81, v81                                     // 0000000070DC: 7EA24151
	v_mfma_f32_32x32x16_fp8_fp8 v[160:175], v[216:217], v[48:49], v[160:175]// 0000000070E0: D3F700A0 068261D8
	v_exp_f32_e32 v82, v82                                     // 0000000070E8: 7EA44152
	v_exp_f32_e32 v83, v83                                     // 0000000070EC: 7EA64153
	v_mfma_f32_32x32x16_fp8_fp8 v[160:175], v[218:219], v[50:51], v[160:175]// 0000000070F0: D3F700A0 068265DA
	v_exp_f32_e32 v84, v84                                     // 0000000070F8: 7EA84154
	v_exp_f32_e32 v85, v85                                     // 0000000070FC: 7EAA4155
	v_mfma_f32_32x32x16_fp8_fp8 v[160:175], v[220:221], v[52:53], v[160:175]// 000000007100: D3F700A0 068269DC
	v_exp_f32_e32 v86, v86                                     // 000000007108: 7EAC4156
	v_exp_f32_e32 v87, v87                                     // 00000000710C: 7EAE4157
	v_mfma_f32_32x32x16_fp8_fp8 v[160:175], v[222:223], v[54:55], v[160:175]// 000000007110: D3F700A0 06826DDE
	s_cbranch_scc0 label_1082                                  // 000000007118: BF8402FB
	s_barrier                                                  // 00000000711C: BF8A0000
	buffer_load_dword v224, v8, s[16:19], s32 offen            // 000000007120: E0501000 2004E008
	ds_read_b128 v[192:195], v12                               // 000000007128: D9FE0000 C000000C
	ds_read_b128 v[196:199], v12 offset:32                     // 000000007130: D9FE0020 C400000C
	buffer_load_dword v225, v9, s[16:19], s32 offen            // 000000007138: E0501000 2004E109
	ds_read_b128 v[200:203], v12 offset:64                     // 000000007140: D9FE0040 C800000C
	ds_read_b128 v[204:207], v12 offset:96                     // 000000007148: D9FE0060 CC00000C
	buffer_load_dword v226, v10, s[16:19], s32 offen           // 000000007150: E0501000 2004E20A
	ds_read_b128 v[208:211], v12 offset:4352                   // 000000007158: D9FE1100 D000000C
	ds_read_b128 v[212:215], v12 offset:4384                   // 000000007160: D9FE1120 D400000C
	buffer_load_dword v227, v11, s[16:19], s32 offen           // 000000007168: E0501000 2004E30B
	ds_read_b128 v[216:219], v12 offset:4416                   // 000000007170: D9FE1140 D800000C
	ds_read_b128 v[220:223], v12 offset:4448                   // 000000007178: D9FE1160 DC00000C
	s_add_i32 s32, s65, s32                                    // 000000007180: 81202041
	s_add_u32 s34, 0x80, s63                                   // 000000007184: 80223FFF 00000080
	s_nop 0                                                    // 00000000718C: BF800000
	s_cmp_lt_u32 s34, s62                                      // 000000007190: BF0A3E22
	s_cselect_b32 s65, s65, 0                                  // 000000007194: 85418041
	s_waitcnt vmcnt(8) lgkmcnt(0)                              // 000000007198: BF8C0078
	s_barrier                                                  // 00000000719C: BF8A0000
	v_perm_b32 v16, v229, v228, s69                            // 0000000071A0: D1ED0010 0117C9E5
	v_perm_b32 v17, v229, v228, s70                            // 0000000071A8: D1ED0011 011BC9E5
	v_perm_b32 v18, v231, v230, s69                            // 0000000071B0: D1ED0012 0117CDE7
	v_perm_b32 v19, v231, v230, s70                            // 0000000071B8: D1ED0013 011BCDE7
	v_perm_b32 v232, v18, v16, s68                             // 0000000071C0: D1ED00E8 01122112
	v_perm_b32 v233, v18, v16, s67                             // 0000000071C8: D1ED00E9 010E2112
	v_perm_b32 v234, v19, v17, s68                             // 0000000071D0: D1ED00EA 01122313
	v_perm_b32 v235, v19, v17, s67                             // 0000000071D8: D1ED00EB 010E2313
	ds_write_b32 v14, v232 offset:17408                        // 0000000071E0: D81A4400 0000E80E
	ds_write_b32 v14, v233 offset:19488                        // 0000000071E8: D81A4C20 0000E90E
	ds_write_b32 v14, v234 offset:21568                        // 0000000071F0: D81A5440 0000EA0E
	ds_write_b32 v14, v235 offset:23648                        // 0000000071F8: D81A5C60 0000EB0E
	s_barrier                                                  // 000000007200: BF8A0000
	v_mfma_f32_32x32x16_fp8_fp8 v[48:63], v[192:193], v[176:177], 0// 000000007204: D3F70030 020361C0
	v_exp_f32_e32 v88, v88                                     // 00000000720C: 7EB04158
	v_exp_f32_e32 v89, v89                                     // 000000007210: 7EB24159
	v_mfma_f32_32x32x16_fp8_fp8 v[48:63], v[194:195], v[178:179], v[48:63]// 000000007214: D3F70030 04C365C2
	v_exp_f32_e32 v90, v90                                     // 00000000721C: 7EB4415A
	v_exp_f32_e32 v91, v91                                     // 000000007220: 7EB6415B
	v_mfma_f32_32x32x16_fp8_fp8 v[48:63], v[196:197], v[180:181], v[48:63]// 000000007224: D3F70030 04C369C4
	v_exp_f32_e32 v92, v92                                     // 00000000722C: 7EB8415C
	v_exp_f32_e32 v93, v93                                     // 000000007230: 7EBA415D
	v_mfma_f32_32x32x16_fp8_fp8 v[48:63], v[198:199], v[182:183], v[48:63]// 000000007234: D3F70030 04C36DC6
	s_waitcnt lgkmcnt(0)                                       // 00000000723C: BF8CC07F
	s_barrier                                                  // 000000007240: BF8A0000
	v_mfma_f32_32x32x16_fp8_fp8 v[48:63], v[200:201], v[184:185], v[48:63]// 000000007244: D3F70030 04C371C8
	v_exp_f32_e32 v94, v94                                     // 00000000724C: 7EBC415E
	v_exp_f32_e32 v95, v95                                     // 000000007250: 7EBE415F
	v_mfma_f32_32x32x16_fp8_fp8 v[48:63], v[202:203], v[186:187], v[48:63]// 000000007254: D3F70030 04C375CA
	v_exp_f32_e32 v96, v96                                     // 00000000725C: 7EC04160
	v_exp_f32_e32 v97, v97                                     // 000000007260: 7EC24161
	v_mfma_f32_32x32x16_fp8_fp8 v[48:63], v[204:205], v[188:189], v[48:63]// 000000007264: D3F70030 04C379CC
	v_exp_f32_e32 v98, v98                                     // 00000000726C: 7EC44162
	v_exp_f32_e32 v99, v99                                     // 000000007270: 7EC64163
	v_mfma_f32_32x32x16_fp8_fp8 v[48:63], v[206:207], v[190:191], v[48:63]// 000000007274: D3F70030 04C37DCE
	v_exp_f32_e32 v100, v100                                   // 00000000727C: 7EC84164
	v_exp_f32_e32 v101, v101                                   // 000000007280: 7ECA4165
	v_mfma_f32_32x32x16_fp8_fp8 v[64:79], v[208:209], v[176:177], 0// 000000007284: D3F70040 020361D0
	v_exp_f32_e32 v102, v102                                   // 00000000728C: 7ECC4166
	v_exp_f32_e32 v103, v103                                   // 000000007290: 7ECE4167
	v_mfma_f32_32x32x16_fp8_fp8 v[64:79], v[210:211], v[178:179], v[64:79]// 000000007294: D3F70040 050365D2
	v_exp_f32_e32 v104, v104                                   // 00000000729C: 7ED04168
	v_exp_f32_e32 v105, v105                                   // 0000000072A0: 7ED24169
	v_mfma_f32_32x32x16_fp8_fp8 v[64:79], v[212:213], v[180:181], v[64:79]// 0000000072A4: D3F70040 050369D4
	v_exp_f32_e32 v106, v106                                   // 0000000072AC: 7ED4416A
	v_exp_f32_e32 v107, v107                                   // 0000000072B0: 7ED6416B
	v_mfma_f32_32x32x16_fp8_fp8 v[64:79], v[214:215], v[182:183], v[64:79]// 0000000072B4: D3F70040 05036DD6
	v_exp_f32_e32 v108, v108                                   // 0000000072BC: 7ED8416C
	v_exp_f32_e32 v109, v109                                   // 0000000072C0: 7EDA416D
	v_mfma_f32_32x32x16_fp8_fp8 v[64:79], v[216:217], v[184:185], v[64:79]// 0000000072C4: D3F70040 050371D8
	v_exp_f32_e32 v110, v110                                   // 0000000072CC: 7EDC416E
	v_exp_f32_e32 v111, v111                                   // 0000000072D0: 7EDE416F
	v_mfma_f32_32x32x16_fp8_fp8 v[64:79], v[218:219], v[186:187], v[64:79]// 0000000072D4: D3F70040 050375DA
	v_mul_f32_e32 v22, v20, v22                                // 0000000072DC: 0A2C2D14
	v_add_f32_e32 v38, v81, v80                                // 0000000072E0: 024CA151
	v_add_f32_e32 v38, v82, v38                                // 0000000072E4: 024C4D52
	v_add_f32_e32 v38, v83, v38                                // 0000000072E8: 024C4D53
	v_add_f32_e32 v38, v84, v38                                // 0000000072EC: 024C4D54
	v_add_f32_e32 v38, v85, v38                                // 0000000072F0: 024C4D55
	v_add_f32_e32 v38, v86, v38                                // 0000000072F4: 024C4D56
	v_mfma_f32_32x32x16_fp8_fp8 v[64:79], v[220:221], v[188:189], v[64:79]// 0000000072F8: D3F70040 050379DC
	v_add_f32_e32 v38, v87, v38                                // 000000007300: 024C4D57
	v_add_f32_e32 v38, v88, v38                                // 000000007304: 024C4D58
	v_add_f32_e32 v38, v89, v38                                // 000000007308: 024C4D59
	v_add_f32_e32 v38, v90, v38                                // 00000000730C: 024C4D5A
	v_add_f32_e32 v38, v91, v38                                // 000000007310: 024C4D5B
	v_add_f32_e32 v38, v92, v38                                // 000000007314: 024C4D5C
	v_add_f32_e32 v38, v93, v38                                // 000000007318: 024C4D5D
	v_mfma_f32_32x32x16_fp8_fp8 v[64:79], v[222:223], v[190:191], v[64:79]// 00000000731C: D3F70040 05037DDE
	v_add_f32_e32 v38, v94, v38                                // 000000007324: 024C4D5E
	v_add_f32_e32 v38, v95, v38                                // 000000007328: 024C4D5F
	v_add_f32_e32 v38, v96, v38                                // 00000000732C: 024C4D60
	v_add_f32_e32 v38, v97, v38                                // 000000007330: 024C4D61
	v_add_f32_e32 v38, v98, v38                                // 000000007334: 024C4D62
	v_add_f32_e32 v38, v99, v38                                // 000000007338: 024C4D63
	v_add_f32_e32 v38, v100, v38                               // 00000000733C: 024C4D64
	v_add_f32_e32 v38, v101, v38                               // 000000007340: 024C4D65
	v_add_f32_e32 v38, v102, v38                               // 000000007344: 024C4D66
	v_add_f32_e32 v38, v103, v38                               // 000000007348: 024C4D67
	v_add_f32_e32 v38, v104, v38                               // 00000000734C: 024C4D68
	v_add_f32_e32 v38, v105, v38                               // 000000007350: 024C4D69
	v_add_f32_e32 v38, v106, v38                               // 000000007354: 024C4D6A
	v_add_f32_e32 v38, v107, v38                               // 000000007358: 024C4D6B
	v_add_f32_e32 v38, v108, v38                               // 00000000735C: 024C4D6C
	v_add_f32_e32 v38, v109, v38                               // 000000007360: 024C4D6D
	v_add_f32_e32 v38, v110, v38                               // 000000007364: 024C4D6E
	v_add_f32_e32 v38, v111, v38                               // 000000007368: 024C4D6F
	v_add_f32_e32 v22, v38, v22                                // 00000000736C: 022C2D26
	v_cvt_pk_fp8_f32 v80, v80, v81                             // 000000007370: D2A20050 0002A350
	v_cvt_pk_fp8_f32 v80, v82, v83 op_sel:[0,0,1]              // 000000007378: D2A24050 0002A752
	v_cvt_pk_fp8_f32 v81, v84, v85                             // 000000007380: D2A20051 0002AB54
	v_cvt_pk_fp8_f32 v81, v86, v87 op_sel:[0,0,1]              // 000000007388: D2A24051 0002AF56
	v_cvt_pk_fp8_f32 v82, v88, v89                             // 000000007390: D2A20052 0002B358
	v_cvt_pk_fp8_f32 v82, v90, v91 op_sel:[0,0,1]              // 000000007398: D2A24052 0002B75A
	v_cvt_pk_fp8_f32 v83, v92, v93                             // 0000000073A0: D2A20053 0002BB5C
	v_cvt_pk_fp8_f32 v83, v94, v95 op_sel:[0,0,1]              // 0000000073A8: D2A24053 0002BF5E
	v_cvt_pk_fp8_f32 v84, v96, v97                             // 0000000073B0: D2A20054 0002C360
	v_cvt_pk_fp8_f32 v84, v98, v99 op_sel:[0,0,1]              // 0000000073B8: D2A24054 0002C762
	v_cvt_pk_fp8_f32 v85, v100, v101                           // 0000000073C0: D2A20055 0002CB64
	v_cvt_pk_fp8_f32 v85, v102, v103 op_sel:[0,0,1]            // 0000000073C8: D2A24055 0002CF66
	v_cvt_pk_fp8_f32 v86, v104, v105                           // 0000000073D0: D2A20056 0002D368
	v_cvt_pk_fp8_f32 v86, v106, v107 op_sel:[0,0,1]            // 0000000073D8: D2A24056 0002D76A
	v_cvt_pk_fp8_f32 v87, v108, v109                           // 0000000073E0: D2A20057 0002DB6C
	v_cvt_pk_fp8_f32 v87, v110, v111 op_sel:[0,0,1]            // 0000000073E8: D2A24057 0002DF6E
	s_nop 0                                                    // 0000000073F0: BF800000
	v_mov_b32_e32 v21, v20                                     // 0000000073F4: 7E2A0314
	v_mul_f32_e32 v112, v20, v112                              // 0000000073F8: 0AE0E114
	v_mul_f32_e32 v113, v20, v113                              // 0000000073FC: 0AE2E314
	v_pk_mul_f32 v[114:115], v[20:21], v[114:115]              // 000000007400: D3B14072 1802E514
	v_pk_mul_f32 v[116:117], v[20:21], v[116:117]              // 000000007408: D3B14074 1802E914
	v_pk_mul_f32 v[118:119], v[20:21], v[118:119]              // 000000007410: D3B14076 1802ED14
	v_pk_mul_f32 v[120:121], v[20:21], v[120:121]              // 000000007418: D3B14078 1802F114
	v_pk_mul_f32 v[122:123], v[20:21], v[122:123]              // 000000007420: D3B1407A 1802F514
	v_pk_mul_f32 v[124:125], v[20:21], v[124:125]              // 000000007428: D3B1407C 1802F914
	v_pk_mul_f32 v[126:127], v[20:21], v[126:127]              // 000000007430: D3B1407E 1802FD14
	v_pk_mul_f32 v[128:129], v[20:21], v[128:129]              // 000000007438: D3B14080 18030114
	v_pk_mul_f32 v[130:131], v[20:21], v[130:131]              // 000000007440: D3B14082 18030514
	v_pk_mul_f32 v[132:133], v[20:21], v[132:133]              // 000000007448: D3B14084 18030914
	v_pk_mul_f32 v[134:135], v[20:21], v[134:135]              // 000000007450: D3B14086 18030D14
	v_pk_mul_f32 v[136:137], v[20:21], v[136:137]              // 000000007458: D3B14088 18031114
	v_pk_mul_f32 v[138:139], v[20:21], v[138:139]              // 000000007460: D3B1408A 18031514
	v_pk_mul_f32 v[140:141], v[20:21], v[140:141]              // 000000007468: D3B1408C 18031914
	v_pk_mul_f32 v[142:143], v[20:21], v[142:143]              // 000000007470: D3B1408E 18031D14
	v_pk_mul_f32 v[144:145], v[20:21], v[144:145]              // 000000007478: D3B14090 18032114
	v_pk_mul_f32 v[146:147], v[20:21], v[146:147]              // 000000007480: D3B14092 18032514
	v_pk_mul_f32 v[148:149], v[20:21], v[148:149]              // 000000007488: D3B14094 18032914
	v_pk_mul_f32 v[150:151], v[20:21], v[150:151]              // 000000007490: D3B14096 18032D14
	v_pk_mul_f32 v[152:153], v[20:21], v[152:153]              // 000000007498: D3B14098 18033114
	v_pk_mul_f32 v[154:155], v[20:21], v[154:155]              // 0000000074A0: D3B1409A 18033514
	v_pk_mul_f32 v[156:157], v[20:21], v[156:157]              // 0000000074A8: D3B1409C 18033914
	v_pk_mul_f32 v[158:159], v[20:21], v[158:159]              // 0000000074B0: D3B1409E 18033D14
	v_pk_mul_f32 v[160:161], v[20:21], v[160:161]              // 0000000074B8: D3B140A0 18034114
	v_pk_mul_f32 v[162:163], v[20:21], v[162:163]              // 0000000074C0: D3B140A2 18034514
	v_pk_mul_f32 v[164:165], v[20:21], v[164:165]              // 0000000074C8: D3B140A4 18034914
	v_pk_mul_f32 v[166:167], v[20:21], v[166:167]              // 0000000074D0: D3B140A6 18034D14
	v_pk_mul_f32 v[168:169], v[20:21], v[168:169]              // 0000000074D8: D3B140A8 18035114
	v_pk_mul_f32 v[170:171], v[20:21], v[170:171]              // 0000000074E0: D3B140AA 18035514
	v_pk_mul_f32 v[172:173], v[20:21], v[172:173]              // 0000000074E8: D3B140AC 18035914
	v_pk_mul_f32 v[174:175], v[20:21], v[174:175]              // 0000000074F0: D3B140AE 18035D14
	s_barrier                                                  // 0000000074F8: BF8A0000
	s_nop 0                                                    // 0000000074FC: BF800000
	s_cmp_lt_i32 s72, s71                                      // 000000007500: BF044748
	s_cbranch_scc1 label_0F8E                                  // 000000007504: BF85010C
	s_sub_i32 s34, s71, s72                                    // 000000007508: 81A24847
	s_sub_i32 s35, s7, s29                                     // 00000000750C: 81A31D07
	s_and_b32 s35, s35, 63                                     // 000000007510: 8623BF23
	s_add_i32 s34, s34, s35                                    // 000000007514: 81222322
	v_add_i32 v16, v29, s34                                    // 000000007518: D29C0010 0000451D
	v_cmp_lt_i32_e64 s[50:51], v16, 0                          // 000000007520: D0C10032 00010110
	v_cmp_lt_i32_e64 s[52:53], v16, 1                          // 000000007528: D0C10034 00010310
	v_cndmask_b32_e64 v48, v48, v31, s[50:51]                  // 000000007530: D1000030 00CA3F30
	v_cndmask_b32_e64 v49, v49, v31, s[52:53]                  // 000000007538: D1000031 00D23F31
	v_cmp_lt_i32_e64 s[50:51], v16, 2                          // 000000007540: D0C10032 00010510
	v_cmp_lt_i32_e64 s[52:53], v16, 3                          // 000000007548: D0C10034 00010710
	v_cndmask_b32_e64 v50, v50, v31, s[50:51]                  // 000000007550: D1000032 00CA3F32
	v_cndmask_b32_e64 v51, v51, v31, s[52:53]                  // 000000007558: D1000033 00D23F33
	v_cmp_lt_i32_e64 s[50:51], v16, 8                          // 000000007560: D0C10032 00011110
	v_cmp_lt_i32_e64 s[52:53], v16, 9                          // 000000007568: D0C10034 00011310
	v_cndmask_b32_e64 v52, v52, v31, s[50:51]                  // 000000007570: D1000034 00CA3F34
	v_cndmask_b32_e64 v53, v53, v31, s[52:53]                  // 000000007578: D1000035 00D23F35
	v_cmp_lt_i32_e64 s[50:51], v16, 10                         // 000000007580: D0C10032 00011510
	v_cmp_lt_i32_e64 s[52:53], v16, 11                         // 000000007588: D0C10034 00011710
	v_cndmask_b32_e64 v54, v54, v31, s[50:51]                  // 000000007590: D1000036 00CA3F36
	v_cndmask_b32_e64 v55, v55, v31, s[52:53]                  // 000000007598: D1000037 00D23F37
	v_cmp_lt_i32_e64 s[50:51], v16, 16                         // 0000000075A0: D0C10032 00012110
	v_cmp_lt_i32_e64 s[52:53], v16, 17                         // 0000000075A8: D0C10034 00012310
	v_cndmask_b32_e64 v56, v56, v31, s[50:51]                  // 0000000075B0: D1000038 00CA3F38
	v_cndmask_b32_e64 v57, v57, v31, s[52:53]                  // 0000000075B8: D1000039 00D23F39
	v_cmp_lt_i32_e64 s[50:51], v16, 18                         // 0000000075C0: D0C10032 00012510
	v_cmp_lt_i32_e64 s[52:53], v16, 19                         // 0000000075C8: D0C10034 00012710
	v_cndmask_b32_e64 v58, v58, v31, s[50:51]                  // 0000000075D0: D100003A 00CA3F3A
	v_cndmask_b32_e64 v59, v59, v31, s[52:53]                  // 0000000075D8: D100003B 00D23F3B
	v_cmp_lt_i32_e64 s[50:51], v16, 24                         // 0000000075E0: D0C10032 00013110
	v_cmp_lt_i32_e64 s[52:53], v16, 25                         // 0000000075E8: D0C10034 00013310
	v_cndmask_b32_e64 v60, v60, v31, s[50:51]                  // 0000000075F0: D100003C 00CA3F3C
	v_cndmask_b32_e64 v61, v61, v31, s[52:53]                  // 0000000075F8: D100003D 00D23F3D
	v_cmp_lt_i32_e64 s[50:51], v16, 26                         // 000000007600: D0C10032 00013510
	v_cmp_lt_i32_e64 s[52:53], v16, 27                         // 000000007608: D0C10034 00013710
	v_cndmask_b32_e64 v62, v62, v31, s[50:51]                  // 000000007610: D100003E 00CA3F3E
	v_cndmask_b32_e64 v63, v63, v31, s[52:53]                  // 000000007618: D100003F 00D23F3F
	v_cmp_lt_i32_e64 s[50:51], v16, 32                         // 000000007620: D0C10032 00014110
	v_cmp_lt_i32_e64 s[52:53], v16, 33                         // 000000007628: D0C10034 00014310
	v_cndmask_b32_e64 v64, v64, v31, s[50:51]                  // 000000007630: D1000040 00CA3F40
	v_cndmask_b32_e64 v65, v65, v31, s[52:53]                  // 000000007638: D1000041 00D23F41
	v_cmp_lt_i32_e64 s[50:51], v16, 34                         // 000000007640: D0C10032 00014510
	v_cmp_lt_i32_e64 s[52:53], v16, 35                         // 000000007648: D0C10034 00014710
	v_cndmask_b32_e64 v66, v66, v31, s[50:51]                  // 000000007650: D1000042 00CA3F42
	v_cndmask_b32_e64 v67, v67, v31, s[52:53]                  // 000000007658: D1000043 00D23F43
	v_cmp_lt_i32_e64 s[50:51], v16, 40                         // 000000007660: D0C10032 00015110
	v_cmp_lt_i32_e64 s[52:53], v16, 41                         // 000000007668: D0C10034 00015310
	v_cndmask_b32_e64 v68, v68, v31, s[50:51]                  // 000000007670: D1000044 00CA3F44
	v_cndmask_b32_e64 v69, v69, v31, s[52:53]                  // 000000007678: D1000045 00D23F45
	v_cmp_lt_i32_e64 s[50:51], v16, 42                         // 000000007680: D0C10032 00015510
	v_cmp_lt_i32_e64 s[52:53], v16, 43                         // 000000007688: D0C10034 00015710
	v_cndmask_b32_e64 v70, v70, v31, s[50:51]                  // 000000007690: D1000046 00CA3F46
	v_cndmask_b32_e64 v71, v71, v31, s[52:53]                  // 000000007698: D1000047 00D23F47
	v_cmp_lt_i32_e64 s[50:51], v16, 48                         // 0000000076A0: D0C10032 00016110
	v_cmp_lt_i32_e64 s[52:53], v16, 49                         // 0000000076A8: D0C10034 00016310
	v_cndmask_b32_e64 v72, v72, v31, s[50:51]                  // 0000000076B0: D1000048 00CA3F48
	v_cndmask_b32_e64 v73, v73, v31, s[52:53]                  // 0000000076B8: D1000049 00D23F49
	v_cmp_lt_i32_e64 s[50:51], v16, 50                         // 0000000076C0: D0C10032 00016510
	v_cmp_lt_i32_e64 s[52:53], v16, 51                         // 0000000076C8: D0C10034 00016710
	v_cndmask_b32_e64 v74, v74, v31, s[50:51]                  // 0000000076D0: D100004A 00CA3F4A
	v_cndmask_b32_e64 v75, v75, v31, s[52:53]                  // 0000000076D8: D100004B 00D23F4B
	v_cmp_lt_i32_e64 s[50:51], v16, 56                         // 0000000076E0: D0C10032 00017110
	v_cmp_lt_i32_e64 s[52:53], v16, 57                         // 0000000076E8: D0C10034 00017310
	v_cndmask_b32_e64 v76, v76, v31, s[50:51]                  // 0000000076F0: D100004C 00CA3F4C
	v_cndmask_b32_e64 v77, v77, v31, s[52:53]                  // 0000000076F8: D100004D 00D23F4D
	v_cmp_lt_i32_e64 s[50:51], v16, 58                         // 000000007700: D0C10032 00017510
	v_cmp_lt_i32_e64 s[52:53], v16, 59                         // 000000007708: D0C10034 00017710
	v_cndmask_b32_e64 v78, v78, v31, s[50:51]                  // 000000007710: D100004E 00CA3F4E
	v_cndmask_b32_e64 v79, v79, v31, s[52:53]                  // 000000007718: D100004F 00D23F4F
	s_nop 0                                                    // 000000007720: BF800000
	s_cmp_lt_i32 s72, s76                                      // 000000007724: BF044C48
	s_cbranch_scc1 label_0F8E                                  // 000000007728: BF850083
	s_sub_i32 s34, s7, s72                                     // 00000000772C: 81A24807
	v_sub_i32 v16, s34, v30                                    // 000000007730: D29D0010 00023C22
	v_cmp_lt_i32_e64 s[50:51], 0, v16                          // 000000007738: D0C10032 00022080
	v_cmp_lt_i32_e64 s[52:53], 1, v16                          // 000000007740: D0C10034 00022081
	v_cndmask_b32_e64 v48, v31, v48, s[50:51]                  // 000000007748: D1000030 00CA611F
	v_cndmask_b32_e64 v49, v31, v49, s[52:53]                  // 000000007750: D1000031 00D2631F
	v_cmp_lt_i32_e64 s[50:51], 2, v16                          // 000000007758: D0C10032 00022082
	v_cmp_lt_i32_e64 s[52:53], 3, v16                          // 000000007760: D0C10034 00022083
	v_cndmask_b32_e64 v50, v31, v50, s[50:51]                  // 000000007768: D1000032 00CA651F
	v_cndmask_b32_e64 v51, v31, v51, s[52:53]                  // 000000007770: D1000033 00D2671F
	v_cmp_lt_i32_e64 s[50:51], 8, v16                          // 000000007778: D0C10032 00022088
	v_cmp_lt_i32_e64 s[52:53], 9, v16                          // 000000007780: D0C10034 00022089
	v_cndmask_b32_e64 v52, v31, v52, s[50:51]                  // 000000007788: D1000034 00CA691F
	v_cndmask_b32_e64 v53, v31, v53, s[52:53]                  // 000000007790: D1000035 00D26B1F
	v_cmp_lt_i32_e64 s[50:51], 10, v16                         // 000000007798: D0C10032 0002208A
	v_cmp_lt_i32_e64 s[52:53], 11, v16                         // 0000000077A0: D0C10034 0002208B
	v_cndmask_b32_e64 v54, v31, v54, s[50:51]                  // 0000000077A8: D1000036 00CA6D1F
	v_cndmask_b32_e64 v55, v31, v55, s[52:53]                  // 0000000077B0: D1000037 00D26F1F
	v_cmp_lt_i32_e64 s[50:51], 16, v16                         // 0000000077B8: D0C10032 00022090
	v_cmp_lt_i32_e64 s[52:53], 17, v16                         // 0000000077C0: D0C10034 00022091
	v_cndmask_b32_e64 v56, v31, v56, s[50:51]                  // 0000000077C8: D1000038 00CA711F
	v_cndmask_b32_e64 v57, v31, v57, s[52:53]                  // 0000000077D0: D1000039 00D2731F
	v_cmp_lt_i32_e64 s[50:51], 18, v16                         // 0000000077D8: D0C10032 00022092
	v_cmp_lt_i32_e64 s[52:53], 19, v16                         // 0000000077E0: D0C10034 00022093
	v_cndmask_b32_e64 v58, v31, v58, s[50:51]                  // 0000000077E8: D100003A 00CA751F
	v_cndmask_b32_e64 v59, v31, v59, s[52:53]                  // 0000000077F0: D100003B 00D2771F
	v_cmp_lt_i32_e64 s[50:51], 24, v16                         // 0000000077F8: D0C10032 00022098
	v_cmp_lt_i32_e64 s[52:53], 25, v16                         // 000000007800: D0C10034 00022099
	v_cndmask_b32_e64 v60, v31, v60, s[50:51]                  // 000000007808: D100003C 00CA791F
	v_cndmask_b32_e64 v61, v31, v61, s[52:53]                  // 000000007810: D100003D 00D27B1F
	v_cmp_lt_i32_e64 s[50:51], 26, v16                         // 000000007818: D0C10032 0002209A
	v_cmp_lt_i32_e64 s[52:53], 27, v16                         // 000000007820: D0C10034 0002209B
	v_cndmask_b32_e64 v62, v31, v62, s[50:51]                  // 000000007828: D100003E 00CA7D1F
	v_cndmask_b32_e64 v63, v31, v63, s[52:53]                  // 000000007830: D100003F 00D27F1F
	v_cmp_lt_i32_e64 s[50:51], 32, v16                         // 000000007838: D0C10032 000220A0
	v_cmp_lt_i32_e64 s[52:53], 33, v16                         // 000000007840: D0C10034 000220A1
	v_cndmask_b32_e64 v64, v31, v64, s[50:51]                  // 000000007848: D1000040 00CA811F
	v_cndmask_b32_e64 v65, v31, v65, s[52:53]                  // 000000007850: D1000041 00D2831F
	v_cmp_lt_i32_e64 s[50:51], 34, v16                         // 000000007858: D0C10032 000220A2
	v_cmp_lt_i32_e64 s[52:53], 35, v16                         // 000000007860: D0C10034 000220A3
	v_cndmask_b32_e64 v66, v31, v66, s[50:51]                  // 000000007868: D1000042 00CA851F
	v_cndmask_b32_e64 v67, v31, v67, s[52:53]                  // 000000007870: D1000043 00D2871F
	v_cmp_lt_i32_e64 s[50:51], 40, v16                         // 000000007878: D0C10032 000220A8
	v_cmp_lt_i32_e64 s[52:53], 41, v16                         // 000000007880: D0C10034 000220A9
	v_cndmask_b32_e64 v68, v31, v68, s[50:51]                  // 000000007888: D1000044 00CA891F
	v_cndmask_b32_e64 v69, v31, v69, s[52:53]                  // 000000007890: D1000045 00D28B1F
	v_cmp_lt_i32_e64 s[50:51], 42, v16                         // 000000007898: D0C10032 000220AA
	v_cmp_lt_i32_e64 s[52:53], 43, v16                         // 0000000078A0: D0C10034 000220AB
	v_cndmask_b32_e64 v70, v31, v70, s[50:51]                  // 0000000078A8: D1000046 00CA8D1F
	v_cndmask_b32_e64 v71, v31, v71, s[52:53]                  // 0000000078B0: D1000047 00D28F1F
	v_cmp_lt_i32_e64 s[50:51], 48, v16                         // 0000000078B8: D0C10032 000220B0
	v_cmp_lt_i32_e64 s[52:53], 49, v16                         // 0000000078C0: D0C10034 000220B1
	v_cndmask_b32_e64 v72, v31, v72, s[50:51]                  // 0000000078C8: D1000048 00CA911F
	v_cndmask_b32_e64 v73, v31, v73, s[52:53]                  // 0000000078D0: D1000049 00D2931F
	v_cmp_lt_i32_e64 s[50:51], 50, v16                         // 0000000078D8: D0C10032 000220B2
	v_cmp_lt_i32_e64 s[52:53], 51, v16                         // 0000000078E0: D0C10034 000220B3
	v_cndmask_b32_e64 v74, v31, v74, s[50:51]                  // 0000000078E8: D100004A 00CA951F
	v_cndmask_b32_e64 v75, v31, v75, s[52:53]                  // 0000000078F0: D100004B 00D2971F
	v_cmp_lt_i32_e64 s[50:51], 56, v16                         // 0000000078F8: D0C10032 000220B8
	v_cmp_lt_i32_e64 s[52:53], 57, v16                         // 000000007900: D0C10034 000220B9
	v_cndmask_b32_e64 v76, v31, v76, s[50:51]                  // 000000007908: D100004C 00CA991F
	v_cndmask_b32_e64 v77, v31, v77, s[52:53]                  // 000000007910: D100004D 00D29B1F
	v_cmp_lt_i32_e64 s[50:51], 58, v16                         // 000000007918: D0C10032 000220BA
	v_cmp_lt_i32_e64 s[52:53], 59, v16                         // 000000007920: D0C10034 000220BB
	v_cndmask_b32_e64 v78, v31, v78, s[50:51]                  // 000000007928: D100004E 00CA9D1F
	v_cndmask_b32_e64 v79, v31, v79, s[52:53]                  // 000000007930: D100004F 00D29F1F

0000000000007938 <label_0F8E>:
	s_nop 0                                                    // 000000007938: BF800000
	s_mov_b32 m0, s54                                          // 00000000793C: BEFC0036
	ds_read_b32 v192, v13 offset:17408                         // 000000007940: D86C4400 C000000D
	ds_read_b32 v193, v13 offset:17664                         // 000000007948: D86C4500 C100000D
	ds_read_b32 v194, v13 offset:17920                         // 000000007950: D86C4600 C200000D
	ds_read_b32 v195, v13 offset:18176                         // 000000007958: D86C4700 C300000D
	ds_read_b32 v196, v13 offset:18432                         // 000000007960: D86C4800 C400000D
	ds_read_b32 v197, v13 offset:18688                         // 000000007968: D86C4900 C500000D
	ds_read_b32 v198, v13 offset:18944                         // 000000007970: D86C4A00 C600000D
	ds_read_b32 v199, v13 offset:19200                         // 000000007978: D86C4B00 C700000D
	s_nop 15                                                   // 000000007980: BF80000F
	s_nop 15                                                   // 000000007984: BF80000F
	buffer_load_dword v4, s[12:15], s57 offen lds              // 000000007988: E0511000 39030004
	s_add_u32 m0, 0x880, m0                                    // 000000007990: 807C7CFF 00000880
	ds_read_b32 v200, v13 offset:17440                         // 000000007998: D86C4420 C800000D
	ds_read_b32 v201, v13 offset:17696                         // 0000000079A0: D86C4520 C900000D
	ds_read_b32 v202, v13 offset:17952                         // 0000000079A8: D86C4620 CA00000D
	ds_read_b32 v203, v13 offset:18208                         // 0000000079B0: D86C4720 CB00000D
	buffer_load_dword v5, s[12:15], s57 offen lds              // 0000000079B8: E0511000 39030005
	s_add_u32 m0, 0x880, m0                                    // 0000000079C0: 807C7CFF 00000880
	ds_read_b32 v204, v13 offset:18464                         // 0000000079C8: D86C4820 CC00000D
	ds_read_b32 v205, v13 offset:18720                         // 0000000079D0: D86C4920 CD00000D
	ds_read_b32 v206, v13 offset:18976                         // 0000000079D8: D86C4A20 CE00000D
	ds_read_b32 v207, v13 offset:19232                         // 0000000079E0: D86C4B20 CF00000D
	buffer_load_dword v6, s[12:15], s57 offen lds              // 0000000079E8: E0511000 39030006
	s_add_u32 m0, 0x880, m0                                    // 0000000079F0: 807C7CFF 00000880
	ds_read_b32 v208, v13 offset:17472                         // 0000000079F8: D86C4440 D000000D
	ds_read_b32 v209, v13 offset:17728                         // 000000007A00: D86C4540 D100000D
	ds_read_b32 v210, v13 offset:17984                         // 000000007A08: D86C4640 D200000D
	ds_read_b32 v211, v13 offset:18240                         // 000000007A10: D86C4740 D300000D
	buffer_load_dword v7, s[12:15], s57 offen lds              // 000000007A18: E0511000 39030007
	s_add_u32 m0, 0x880, m0                                    // 000000007A20: 807C7CFF 00000880
	ds_read_b32 v212, v13 offset:18496                         // 000000007A28: D86C4840 D400000D
	ds_read_b32 v213, v13 offset:18752                         // 000000007A30: D86C4940 D500000D
	ds_read_b32 v214, v13 offset:19008                         // 000000007A38: D86C4A40 D600000D
	ds_read_b32 v215, v13 offset:19264                         // 000000007A40: D86C4B40 D700000D
	ds_read_b32 v216, v13 offset:17504                         // 000000007A48: D86C4460 D800000D
	ds_read_b32 v217, v13 offset:17760                         // 000000007A50: D86C4560 D900000D
	ds_read_b32 v218, v13 offset:18016                         // 000000007A58: D86C4660 DA00000D
	ds_read_b32 v219, v13 offset:18272                         // 000000007A60: D86C4760 DB00000D
	ds_read_b32 v220, v13 offset:18528                         // 000000007A68: D86C4860 DC00000D
	ds_read_b32 v221, v13 offset:18784                         // 000000007A70: D86C4960 DD00000D
	ds_read_b32 v222, v13 offset:19040                         // 000000007A78: D86C4A60 DE00000D
	ds_read_b32 v223, v13 offset:19296                         // 000000007A80: D86C4B60 DF00000D
	s_add_i32 s57, s64, s57                                    // 000000007A88: 81393940
	s_add_u32 s34, 0x100, s63                                  // 000000007A8C: 80223FFF 00000100
	s_cmp_lt_u32 s34, s62                                      // 000000007A94: BF0A3E22
	s_cselect_b32 s64, s64, 0                                  // 000000007A98: 85408040
	s_add_i32 s72, s72, s73                                    // 000000007A9C: 81484948
	s_addk_i32 s63, 0x40                                       // 000000007AA0: B73F0040
	s_cmp_lt_i32 s63, s62                                      // 000000007AA4: BF043E3F
	s_waitcnt vmcnt(8) lgkmcnt(0)                              // 000000007AA8: BF8C0078
	s_barrier                                                  // 000000007AAC: BF8A0000
	v_mfma_f32_32x32x16_fp8_fp8 v[112:127], v[192:193], v[80:81], v[112:127]// 000000007AB0: D3F70070 05C2A1C0
	v_max3_f32 v25, v48, v49, v28                              // 000000007AB8: D1D30019 04726330
	v_max3_f32 v25, v50, v51, v25                              // 000000007AC0: D1D30019 04666732
	v_max3_f32 v25, v52, v53, v25                              // 000000007AC8: D1D30019 04666B34
	v_max3_f32 v25, v54, v55, v25                              // 000000007AD0: D1D30019 04666F36
	v_max3_f32 v25, v56, v57, v25                              // 000000007AD8: D1D30019 04667338
	v_max3_f32 v25, v58, v59, v25                              // 000000007AE0: D1D30019 0466773A
	v_max3_f32 v25, v60, v61, v25                              // 000000007AE8: D1D30019 04667B3C
	v_mfma_f32_32x32x16_fp8_fp8 v[112:127], v[194:195], v[82:83], v[112:127]// 000000007AF0: D3F70070 05C2A5C2
	v_max3_f32 v25, v62, v63, v25                              // 000000007AF8: D1D30019 04667F3E
	v_max3_f32 v25, v64, v65, v25                              // 000000007B00: D1D30019 04668340
	v_max3_f32 v25, v66, v67, v25                              // 000000007B08: D1D30019 04668742
	v_max3_f32 v25, v68, v69, v25                              // 000000007B10: D1D30019 04668B44
	v_max3_f32 v25, v70, v71, v25                              // 000000007B18: D1D30019 04668F46
	v_max3_f32 v25, v72, v73, v25                              // 000000007B20: D1D30019 04669348
	v_max3_f32 v25, v74, v75, v25                              // 000000007B28: D1D30019 0466974A
	v_mfma_f32_32x32x16_fp8_fp8 v[112:127], v[196:197], v[84:85], v[112:127]// 000000007B30: D3F70070 05C2A9C4
	v_max3_f32 v25, v76, v77, v25                              // 000000007B38: D1D30019 04669B4C
	v_max3_f32 v25, v78, v79, v25                              // 000000007B40: D1D30019 04669F4E
	ds_permute_b32 v24, v32, v25                               // 000000007B48: D87C0000 18001920
	v_mfma_f32_32x32x16_fp8_fp8 v[112:127], v[198:199], v[86:87], v[112:127]// 000000007B50: D3F70070 05C2ADC6
	v_nop                                                      // 000000007B58: 7E000000
	s_nop 0                                                    // 000000007B5C: BF800000
	v_mfma_f32_32x32x16_fp8_fp8 v[128:143], v[200:201], v[80:81], v[128:143]// 000000007B60: D3F70080 0602A1C8
	v_nop                                                      // 000000007B68: 7E000000
	v_mfma_f32_32x32x16_fp8_fp8 v[128:143], v[202:203], v[82:83], v[128:143]// 000000007B6C: D3F70080 0602A5CA
	s_waitcnt lgkmcnt(0)                                       // 000000007B74: BF8CC07F
	v_max_f32_e32 v25, v24, v25                                // 000000007B78: 16323318
	v_sub_f32_e32 v20, v28, v25                                // 000000007B7C: 0428331C
	v_mov_b32_e32 v28, v25                                     // 000000007B80: 7E380319
	v_mul_f32_e32 v27, s74, v25                                // 000000007B84: 0A36324A
	v_mul_f32_e32 v20, s74, v20                                // 000000007B88: 0A28284A
	v_mfma_f32_32x32x16_fp8_fp8 v[128:143], v[204:205], v[84:85], v[128:143]// 000000007B8C: D3F70080 0602A9CC
	v_exp_f32_e32 v20, v20                                     // 000000007B94: 7E284114
	v_fma_f32 v48, v48, s74, -v27                              // 000000007B98: D1CB0030 846C9530
	v_fma_f32 v49, v49, s74, -v27                              // 000000007BA0: D1CB0031 846C9531
	v_fma_f32 v50, v50, s74, -v27                              // 000000007BA8: D1CB0032 846C9532
	v_mfma_f32_32x32x16_fp8_fp8 v[128:143], v[206:207], v[86:87], v[128:143]// 000000007BB0: D3F70080 0602ADCE
	v_fma_f32 v51, v51, s74, -v27                              // 000000007BB8: D1CB0033 846C9533
	v_fma_f32 v52, v52, s74, -v27                              // 000000007BC0: D1CB0034 846C9534
	v_fma_f32 v53, v53, s74, -v27                              // 000000007BC8: D1CB0035 846C9535
	v_fma_f32 v54, v54, s74, -v27                              // 000000007BD0: D1CB0036 846C9536
	v_fma_f32 v55, v55, s74, -v27                              // 000000007BD8: D1CB0037 846C9537
	v_fma_f32 v56, v56, s74, -v27                              // 000000007BE0: D1CB0038 846C9538
	v_fma_f32 v57, v57, s74, -v27                              // 000000007BE8: D1CB0039 846C9539
	v_mfma_f32_32x32x16_fp8_fp8 v[144:159], v[208:209], v[80:81], v[144:159]// 000000007BF0: D3F70090 0642A1D0
	v_fma_f32 v58, v58, s74, -v27                              // 000000007BF8: D1CB003A 846C953A
	v_fma_f32 v59, v59, s74, -v27                              // 000000007C00: D1CB003B 846C953B
	v_fma_f32 v60, v60, s74, -v27                              // 000000007C08: D1CB003C 846C953C
	v_fma_f32 v61, v61, s74, -v27                              // 000000007C10: D1CB003D 846C953D
	v_fma_f32 v62, v62, s74, -v27                              // 000000007C18: D1CB003E 846C953E
	v_fma_f32 v63, v63, s74, -v27                              // 000000007C20: D1CB003F 846C953F
	v_fma_f32 v64, v64, s74, -v27                              // 000000007C28: D1CB0040 846C9540
	v_mfma_f32_32x32x16_fp8_fp8 v[144:159], v[210:211], v[82:83], v[144:159]// 000000007C30: D3F70090 0642A5D2
	v_fma_f32 v65, v65, s74, -v27                              // 000000007C38: D1CB0041 846C9541
	v_fma_f32 v66, v66, s74, -v27                              // 000000007C40: D1CB0042 846C9542
	v_fma_f32 v67, v67, s74, -v27                              // 000000007C48: D1CB0043 846C9543
	v_fma_f32 v68, v68, s74, -v27                              // 000000007C50: D1CB0044 846C9544
	v_fma_f32 v69, v69, s74, -v27                              // 000000007C58: D1CB0045 846C9545
	v_fma_f32 v70, v70, s74, -v27                              // 000000007C60: D1CB0046 846C9546
	v_fma_f32 v71, v71, s74, -v27                              // 000000007C68: D1CB0047 846C9547
	v_mfma_f32_32x32x16_fp8_fp8 v[144:159], v[212:213], v[84:85], v[144:159]// 000000007C70: D3F70090 0642A9D4
	v_fma_f32 v72, v72, s74, -v27                              // 000000007C78: D1CB0048 846C9548
	v_fma_f32 v73, v73, s74, -v27                              // 000000007C80: D1CB0049 846C9549
	v_fma_f32 v74, v74, s74, -v27                              // 000000007C88: D1CB004A 846C954A
	v_fma_f32 v75, v75, s74, -v27                              // 000000007C90: D1CB004B 846C954B
	v_fma_f32 v76, v76, s74, -v27                              // 000000007C98: D1CB004C 846C954C
	v_fma_f32 v77, v77, s74, -v27                              // 000000007CA0: D1CB004D 846C954D
	v_fma_f32 v78, v78, s74, -v27                              // 000000007CA8: D1CB004E 846C954E
	v_mfma_f32_32x32x16_fp8_fp8 v[144:159], v[214:215], v[86:87], v[144:159]// 000000007CB0: D3F70090 0642ADD6
	v_fma_f32 v79, v79, s74, -v27                              // 000000007CB8: D1CB004F 846C954F
	v_exp_f32_e32 v48, v48                                     // 000000007CC0: 7E604130
	v_exp_f32_e32 v49, v49                                     // 000000007CC4: 7E624131
	v_mfma_f32_32x32x16_fp8_fp8 v[160:175], v[216:217], v[80:81], v[160:175]// 000000007CC8: D3F700A0 0682A1D8
	v_exp_f32_e32 v50, v50                                     // 000000007CD0: 7E644132
	v_exp_f32_e32 v51, v51                                     // 000000007CD4: 7E664133
	v_mfma_f32_32x32x16_fp8_fp8 v[160:175], v[218:219], v[82:83], v[160:175]// 000000007CD8: D3F700A0 0682A5DA
	v_exp_f32_e32 v52, v52                                     // 000000007CE0: 7E684134
	v_exp_f32_e32 v53, v53                                     // 000000007CE4: 7E6A4135
	v_mfma_f32_32x32x16_fp8_fp8 v[160:175], v[220:221], v[84:85], v[160:175]// 000000007CE8: D3F700A0 0682A9DC
	v_exp_f32_e32 v54, v54                                     // 000000007CF0: 7E6C4136
	v_exp_f32_e32 v55, v55                                     // 000000007CF4: 7E6E4137
	v_mfma_f32_32x32x16_fp8_fp8 v[160:175], v[222:223], v[86:87], v[160:175]// 000000007CF8: D3F700A0 0682ADDE
	s_cbranch_scc0 label_1082                                  // 000000007D00: BF840001
	s_branch label_0A8D                                        // 000000007D04: BF82FA0B

0000000000007d08 <label_1082>:
	s_add_u32 s34, s62, 63                                     // 000000007D08: 8022BF3E
	s_lshr_b32 s34, s34, 6                                     // 000000007D0C: 8F228622
	s_and_b32 s34, 1, s34                                      // 000000007D10: 86222281
	s_cmp_lt_i32 s34, 1                                        // 000000007D14: BF048122
	s_cbranch_scc0 label_11A1                                  // 000000007D18: BF84011A
	s_waitcnt vmcnt(4)                                         // 000000007D1C: BF8C0F74
	s_barrier                                                  // 000000007D20: BF8A0000
	s_nop 0                                                    // 000000007D24: BF800000
	v_perm_b32 v16, v229, v228, s69                            // 000000007D28: D1ED0010 0117C9E5
	v_perm_b32 v17, v229, v228, s70                            // 000000007D30: D1ED0011 011BC9E5
	v_perm_b32 v18, v231, v230, s69                            // 000000007D38: D1ED0012 0117CDE7
	v_perm_b32 v19, v231, v230, s70                            // 000000007D40: D1ED0013 011BCDE7
	v_perm_b32 v232, v18, v16, s68                             // 000000007D48: D1ED00E8 01122112
	v_perm_b32 v233, v18, v16, s67                             // 000000007D50: D1ED00E9 010E2112
	v_perm_b32 v234, v19, v17, s68                             // 000000007D58: D1ED00EA 01122313
	v_perm_b32 v235, v19, v17, s67                             // 000000007D60: D1ED00EB 010E2313
	ds_write_b32 v14, v232 offset:17408                        // 000000007D68: D81A4400 0000E80E
	ds_write_b32 v14, v233 offset:19488                        // 000000007D70: D81A4C20 0000E90E
	ds_write_b32 v14, v234 offset:21568                        // 000000007D78: D81A5440 0000EA0E
	ds_write_b32 v14, v235 offset:23648                        // 000000007D80: D81A5C60 0000EB0E
	s_waitcnt lgkmcnt(0)                                       // 000000007D88: BF8CC07F
	s_barrier                                                  // 000000007D8C: BF8A0000
	ds_read_b32 v192, v13 offset:17408                         // 000000007D90: D86C4400 C000000D
	ds_read_b32 v193, v13 offset:17664                         // 000000007D98: D86C4500 C100000D
	ds_read_b32 v194, v13 offset:17920                         // 000000007DA0: D86C4600 C200000D
	ds_read_b32 v195, v13 offset:18176                         // 000000007DA8: D86C4700 C300000D
	ds_read_b32 v196, v13 offset:18432                         // 000000007DB0: D86C4800 C400000D
	ds_read_b32 v197, v13 offset:18688                         // 000000007DB8: D86C4900 C500000D
	ds_read_b32 v198, v13 offset:18944                         // 000000007DC0: D86C4A00 C600000D
	ds_read_b32 v199, v13 offset:19200                         // 000000007DC8: D86C4B00 C700000D
	ds_read_b32 v200, v13 offset:17440                         // 000000007DD0: D86C4420 C800000D
	ds_read_b32 v201, v13 offset:17696                         // 000000007DD8: D86C4520 C900000D
	ds_read_b32 v202, v13 offset:17952                         // 000000007DE0: D86C4620 CA00000D
	ds_read_b32 v203, v13 offset:18208                         // 000000007DE8: D86C4720 CB00000D
	ds_read_b32 v204, v13 offset:18464                         // 000000007DF0: D86C4820 CC00000D
	ds_read_b32 v205, v13 offset:18720                         // 000000007DF8: D86C4920 CD00000D
	ds_read_b32 v206, v13 offset:18976                         // 000000007E00: D86C4A20 CE00000D
	ds_read_b32 v207, v13 offset:19232                         // 000000007E08: D86C4B20 CF00000D
	ds_read_b32 v208, v13 offset:17472                         // 000000007E10: D86C4440 D000000D
	ds_read_b32 v209, v13 offset:17728                         // 000000007E18: D86C4540 D100000D
	ds_read_b32 v210, v13 offset:17984                         // 000000007E20: D86C4640 D200000D
	ds_read_b32 v211, v13 offset:18240                         // 000000007E28: D86C4740 D300000D
	ds_read_b32 v212, v13 offset:18496                         // 000000007E30: D86C4840 D400000D
	ds_read_b32 v213, v13 offset:18752                         // 000000007E38: D86C4940 D500000D
	ds_read_b32 v214, v13 offset:19008                         // 000000007E40: D86C4A40 D600000D
	ds_read_b32 v215, v13 offset:19264                         // 000000007E48: D86C4B40 D700000D
	ds_read_b32 v216, v13 offset:17504                         // 000000007E50: D86C4460 D800000D
	ds_read_b32 v217, v13 offset:17760                         // 000000007E58: D86C4560 D900000D
	ds_read_b32 v218, v13 offset:18016                         // 000000007E60: D86C4660 DA00000D
	ds_read_b32 v219, v13 offset:18272                         // 000000007E68: D86C4760 DB00000D
	ds_read_b32 v220, v13 offset:18528                         // 000000007E70: D86C4860 DC00000D
	ds_read_b32 v221, v13 offset:18784                         // 000000007E78: D86C4960 DD00000D
	ds_read_b32 v222, v13 offset:19040                         // 000000007E80: D86C4A60 DE00000D
	ds_read_b32 v223, v13 offset:19296                         // 000000007E88: D86C4B60 DF00000D
	v_exp_f32_e32 v88, v88                                     // 000000007E90: 7EB04158
	v_exp_f32_e32 v89, v89                                     // 000000007E94: 7EB24159
	v_exp_f32_e32 v90, v90                                     // 000000007E98: 7EB4415A
	v_exp_f32_e32 v91, v91                                     // 000000007E9C: 7EB6415B
	v_exp_f32_e32 v92, v92                                     // 000000007EA0: 7EB8415C
	v_exp_f32_e32 v93, v93                                     // 000000007EA4: 7EBA415D
	v_exp_f32_e32 v94, v94                                     // 000000007EA8: 7EBC415E
	v_exp_f32_e32 v95, v95                                     // 000000007EAC: 7EBE415F
	v_exp_f32_e32 v96, v96                                     // 000000007EB0: 7EC04160
	v_exp_f32_e32 v97, v97                                     // 000000007EB4: 7EC24161
	v_exp_f32_e32 v98, v98                                     // 000000007EB8: 7EC44162
	v_exp_f32_e32 v99, v99                                     // 000000007EBC: 7EC64163
	v_exp_f32_e32 v100, v100                                   // 000000007EC0: 7EC84164
	v_exp_f32_e32 v101, v101                                   // 000000007EC4: 7ECA4165
	v_exp_f32_e32 v102, v102                                   // 000000007EC8: 7ECC4166
	v_exp_f32_e32 v103, v103                                   // 000000007ECC: 7ECE4167
	v_exp_f32_e32 v104, v104                                   // 000000007ED0: 7ED04168
	v_exp_f32_e32 v105, v105                                   // 000000007ED4: 7ED24169
	v_exp_f32_e32 v106, v106                                   // 000000007ED8: 7ED4416A
	v_exp_f32_e32 v107, v107                                   // 000000007EDC: 7ED6416B
	v_exp_f32_e32 v108, v108                                   // 000000007EE0: 7ED8416C
	v_exp_f32_e32 v109, v109                                   // 000000007EE4: 7EDA416D
	v_exp_f32_e32 v110, v110                                   // 000000007EE8: 7EDC416E
	v_exp_f32_e32 v111, v111                                   // 000000007EEC: 7EDE416F
	v_mul_f32_e32 v22, v20, v22                                // 000000007EF0: 0A2C2D14
	v_add_f32_e32 v38, v81, v80                                // 000000007EF4: 024CA151
	v_add_f32_e32 v38, v82, v38                                // 000000007EF8: 024C4D52
	v_add_f32_e32 v38, v83, v38                                // 000000007EFC: 024C4D53
	v_add_f32_e32 v38, v84, v38                                // 000000007F00: 024C4D54
	v_add_f32_e32 v38, v85, v38                                // 000000007F04: 024C4D55
	v_add_f32_e32 v38, v86, v38                                // 000000007F08: 024C4D56
	v_add_f32_e32 v38, v87, v38                                // 000000007F0C: 024C4D57
	v_add_f32_e32 v38, v88, v38                                // 000000007F10: 024C4D58
	v_add_f32_e32 v38, v89, v38                                // 000000007F14: 024C4D59
	v_add_f32_e32 v38, v90, v38                                // 000000007F18: 024C4D5A
	v_add_f32_e32 v38, v91, v38                                // 000000007F1C: 024C4D5B
	v_add_f32_e32 v38, v92, v38                                // 000000007F20: 024C4D5C
	v_add_f32_e32 v38, v93, v38                                // 000000007F24: 024C4D5D
	v_add_f32_e32 v38, v94, v38                                // 000000007F28: 024C4D5E
	v_add_f32_e32 v38, v95, v38                                // 000000007F2C: 024C4D5F
	v_add_f32_e32 v38, v96, v38                                // 000000007F30: 024C4D60
	v_add_f32_e32 v38, v97, v38                                // 000000007F34: 024C4D61
	v_add_f32_e32 v38, v98, v38                                // 000000007F38: 024C4D62
	v_add_f32_e32 v38, v99, v38                                // 000000007F3C: 024C4D63
	v_add_f32_e32 v38, v100, v38                               // 000000007F40: 024C4D64
	v_add_f32_e32 v38, v101, v38                               // 000000007F44: 024C4D65
	v_add_f32_e32 v38, v102, v38                               // 000000007F48: 024C4D66
	v_add_f32_e32 v38, v103, v38                               // 000000007F4C: 024C4D67
	v_add_f32_e32 v38, v104, v38                               // 000000007F50: 024C4D68
	v_add_f32_e32 v38, v105, v38                               // 000000007F54: 024C4D69
	v_add_f32_e32 v38, v106, v38                               // 000000007F58: 024C4D6A
	v_add_f32_e32 v38, v107, v38                               // 000000007F5C: 024C4D6B
	v_add_f32_e32 v38, v108, v38                               // 000000007F60: 024C4D6C
	v_add_f32_e32 v38, v109, v38                               // 000000007F64: 024C4D6D
	v_add_f32_e32 v38, v110, v38                               // 000000007F68: 024C4D6E
	v_add_f32_e32 v38, v111, v38                               // 000000007F6C: 024C4D6F
	v_add_f32_e32 v22, v38, v22                                // 000000007F70: 022C2D26
	v_cvt_pk_fp8_f32 v80, v80, v81                             // 000000007F74: D2A20050 0002A350
	v_cvt_pk_fp8_f32 v80, v82, v83 op_sel:[0,0,1]              // 000000007F7C: D2A24050 0002A752
	v_cvt_pk_fp8_f32 v81, v84, v85                             // 000000007F84: D2A20051 0002AB54
	v_cvt_pk_fp8_f32 v81, v86, v87 op_sel:[0,0,1]              // 000000007F8C: D2A24051 0002AF56
	v_cvt_pk_fp8_f32 v82, v88, v89                             // 000000007F94: D2A20052 0002B358
	v_cvt_pk_fp8_f32 v82, v90, v91 op_sel:[0,0,1]              // 000000007F9C: D2A24052 0002B75A
	v_cvt_pk_fp8_f32 v83, v92, v93                             // 000000007FA4: D2A20053 0002BB5C
	v_cvt_pk_fp8_f32 v83, v94, v95 op_sel:[0,0,1]              // 000000007FAC: D2A24053 0002BF5E
	v_cvt_pk_fp8_f32 v84, v96, v97                             // 000000007FB4: D2A20054 0002C360
	v_cvt_pk_fp8_f32 v84, v98, v99 op_sel:[0,0,1]              // 000000007FBC: D2A24054 0002C762
	v_cvt_pk_fp8_f32 v85, v100, v101                           // 000000007FC4: D2A20055 0002CB64
	v_cvt_pk_fp8_f32 v85, v102, v103 op_sel:[0,0,1]            // 000000007FCC: D2A24055 0002CF66
	v_cvt_pk_fp8_f32 v86, v104, v105                           // 000000007FD4: D2A20056 0002D368
	v_cvt_pk_fp8_f32 v86, v106, v107 op_sel:[0,0,1]            // 000000007FDC: D2A24056 0002D76A
	v_cvt_pk_fp8_f32 v87, v108, v109                           // 000000007FE4: D2A20057 0002DB6C
	v_cvt_pk_fp8_f32 v87, v110, v111 op_sel:[0,0,1]            // 000000007FEC: D2A24057 0002DF6E
	v_mov_b32_e32 v21, v20                                     // 000000007FF4: 7E2A0314
	v_mul_f32_e32 v112, v20, v112                              // 000000007FF8: 0AE0E114
	v_mul_f32_e32 v113, v20, v113                              // 000000007FFC: 0AE2E314
	v_pk_mul_f32 v[114:115], v[20:21], v[114:115]              // 000000008000: D3B14072 1802E514
	v_pk_mul_f32 v[116:117], v[20:21], v[116:117]              // 000000008008: D3B14074 1802E914
	v_pk_mul_f32 v[118:119], v[20:21], v[118:119]              // 000000008010: D3B14076 1802ED14
	v_pk_mul_f32 v[120:121], v[20:21], v[120:121]              // 000000008018: D3B14078 1802F114
	v_pk_mul_f32 v[122:123], v[20:21], v[122:123]              // 000000008020: D3B1407A 1802F514
	v_pk_mul_f32 v[124:125], v[20:21], v[124:125]              // 000000008028: D3B1407C 1802F914
	v_pk_mul_f32 v[126:127], v[20:21], v[126:127]              // 000000008030: D3B1407E 1802FD14
	v_pk_mul_f32 v[128:129], v[20:21], v[128:129]              // 000000008038: D3B14080 18030114
	v_pk_mul_f32 v[130:131], v[20:21], v[130:131]              // 000000008040: D3B14082 18030514
	v_pk_mul_f32 v[132:133], v[20:21], v[132:133]              // 000000008048: D3B14084 18030914
	v_pk_mul_f32 v[134:135], v[20:21], v[134:135]              // 000000008050: D3B14086 18030D14
	v_pk_mul_f32 v[136:137], v[20:21], v[136:137]              // 000000008058: D3B14088 18031114
	v_pk_mul_f32 v[138:139], v[20:21], v[138:139]              // 000000008060: D3B1408A 18031514
	v_pk_mul_f32 v[140:141], v[20:21], v[140:141]              // 000000008068: D3B1408C 18031914
	v_pk_mul_f32 v[142:143], v[20:21], v[142:143]              // 000000008070: D3B1408E 18031D14
	v_pk_mul_f32 v[144:145], v[20:21], v[144:145]              // 000000008078: D3B14090 18032114
	v_pk_mul_f32 v[146:147], v[20:21], v[146:147]              // 000000008080: D3B14092 18032514
	v_pk_mul_f32 v[148:149], v[20:21], v[148:149]              // 000000008088: D3B14094 18032914
	v_pk_mul_f32 v[150:151], v[20:21], v[150:151]              // 000000008090: D3B14096 18032D14
	v_pk_mul_f32 v[152:153], v[20:21], v[152:153]              // 000000008098: D3B14098 18033114
	v_pk_mul_f32 v[154:155], v[20:21], v[154:155]              // 0000000080A0: D3B1409A 18033514
	v_pk_mul_f32 v[156:157], v[20:21], v[156:157]              // 0000000080A8: D3B1409C 18033914
	v_pk_mul_f32 v[158:159], v[20:21], v[158:159]              // 0000000080B0: D3B1409E 18033D14
	v_pk_mul_f32 v[160:161], v[20:21], v[160:161]              // 0000000080B8: D3B140A0 18034114
	v_pk_mul_f32 v[162:163], v[20:21], v[162:163]              // 0000000080C0: D3B140A2 18034514
	v_pk_mul_f32 v[164:165], v[20:21], v[164:165]              // 0000000080C8: D3B140A4 18034914
	v_pk_mul_f32 v[166:167], v[20:21], v[166:167]              // 0000000080D0: D3B140A6 18034D14
	v_pk_mul_f32 v[168:169], v[20:21], v[168:169]              // 0000000080D8: D3B140A8 18035114
	v_pk_mul_f32 v[170:171], v[20:21], v[170:171]              // 0000000080E0: D3B140AA 18035514
	v_pk_mul_f32 v[172:173], v[20:21], v[172:173]              // 0000000080E8: D3B140AC 18035914
	v_pk_mul_f32 v[174:175], v[20:21], v[174:175]              // 0000000080F0: D3B140AE 18035D14
	s_waitcnt lgkmcnt(0)                                       // 0000000080F8: BF8CC07F
	s_nop 0                                                    // 0000000080FC: BF800000
	v_mfma_f32_32x32x16_fp8_fp8 v[112:127], v[192:193], v[80:81], v[112:127]// 000000008100: D3F70070 05C2A1C0
	v_mfma_f32_32x32x16_fp8_fp8 v[112:127], v[194:195], v[82:83], v[112:127]// 000000008108: D3F70070 05C2A5C2
	v_mfma_f32_32x32x16_fp8_fp8 v[112:127], v[196:197], v[84:85], v[112:127]// 000000008110: D3F70070 05C2A9C4
	v_mfma_f32_32x32x16_fp8_fp8 v[112:127], v[198:199], v[86:87], v[112:127]// 000000008118: D3F70070 05C2ADC6
	v_mfma_f32_32x32x16_fp8_fp8 v[128:143], v[200:201], v[80:81], v[128:143]// 000000008120: D3F70080 0602A1C8
	v_mfma_f32_32x32x16_fp8_fp8 v[128:143], v[202:203], v[82:83], v[128:143]// 000000008128: D3F70080 0602A5CA
	v_mfma_f32_32x32x16_fp8_fp8 v[128:143], v[204:205], v[84:85], v[128:143]// 000000008130: D3F70080 0602A9CC
	v_mfma_f32_32x32x16_fp8_fp8 v[128:143], v[206:207], v[86:87], v[128:143]// 000000008138: D3F70080 0602ADCE
	v_mfma_f32_32x32x16_fp8_fp8 v[144:159], v[208:209], v[80:81], v[144:159]// 000000008140: D3F70090 0642A1D0
	v_mfma_f32_32x32x16_fp8_fp8 v[144:159], v[210:211], v[82:83], v[144:159]// 000000008148: D3F70090 0642A5D2
	v_mfma_f32_32x32x16_fp8_fp8 v[144:159], v[212:213], v[84:85], v[144:159]// 000000008150: D3F70090 0642A9D4
	v_mfma_f32_32x32x16_fp8_fp8 v[144:159], v[214:215], v[86:87], v[144:159]// 000000008158: D3F70090 0642ADD6
	v_mfma_f32_32x32x16_fp8_fp8 v[160:175], v[216:217], v[80:81], v[160:175]// 000000008160: D3F700A0 0682A1D8
	v_mfma_f32_32x32x16_fp8_fp8 v[160:175], v[218:219], v[82:83], v[160:175]// 000000008168: D3F700A0 0682A5DA
	v_mfma_f32_32x32x16_fp8_fp8 v[160:175], v[220:221], v[84:85], v[160:175]// 000000008170: D3F700A0 0682A9DC
	v_mfma_f32_32x32x16_fp8_fp8 v[160:175], v[222:223], v[86:87], v[160:175]// 000000008178: D3F700A0 0682ADDE
	s_branch label_12BA                                        // 000000008180: BF820119

0000000000008184 <label_11A1>:
	s_waitcnt vmcnt(4)                                         // 000000008184: BF8C0F74
	s_barrier                                                  // 000000008188: BF8A0000
	s_nop 0                                                    // 00000000818C: BF800000
	v_perm_b32 v16, v225, v224, s69                            // 000000008190: D1ED0010 0117C1E1
	v_perm_b32 v17, v225, v224, s70                            // 000000008198: D1ED0011 011BC1E1
	v_perm_b32 v18, v227, v226, s69                            // 0000000081A0: D1ED0012 0117C5E3
	v_perm_b32 v19, v227, v226, s70                            // 0000000081A8: D1ED0013 011BC5E3
	v_perm_b32 v232, v18, v16, s68                             // 0000000081B0: D1ED00E8 01122112
	v_perm_b32 v233, v18, v16, s67                             // 0000000081B8: D1ED00E9 010E2112
	v_perm_b32 v234, v19, v17, s68                             // 0000000081C0: D1ED00EA 01122313
	v_perm_b32 v235, v19, v17, s67                             // 0000000081C8: D1ED00EB 010E2313
	ds_write_b32 v14, v232 offset:17408                        // 0000000081D0: D81A4400 0000E80E
	ds_write_b32 v14, v233 offset:19488                        // 0000000081D8: D81A4C20 0000E90E
	ds_write_b32 v14, v234 offset:21568                        // 0000000081E0: D81A5440 0000EA0E
	ds_write_b32 v14, v235 offset:23648                        // 0000000081E8: D81A5C60 0000EB0E
	s_waitcnt lgkmcnt(0)                                       // 0000000081F0: BF8CC07F
	s_barrier                                                  // 0000000081F4: BF8A0000
	ds_read_b32 v192, v13 offset:17408                         // 0000000081F8: D86C4400 C000000D
	ds_read_b32 v193, v13 offset:17664                         // 000000008200: D86C4500 C100000D
	ds_read_b32 v194, v13 offset:17920                         // 000000008208: D86C4600 C200000D
	ds_read_b32 v195, v13 offset:18176                         // 000000008210: D86C4700 C300000D
	ds_read_b32 v196, v13 offset:18432                         // 000000008218: D86C4800 C400000D
	ds_read_b32 v197, v13 offset:18688                         // 000000008220: D86C4900 C500000D
	ds_read_b32 v198, v13 offset:18944                         // 000000008228: D86C4A00 C600000D
	ds_read_b32 v199, v13 offset:19200                         // 000000008230: D86C4B00 C700000D
	ds_read_b32 v200, v13 offset:17440                         // 000000008238: D86C4420 C800000D
	ds_read_b32 v201, v13 offset:17696                         // 000000008240: D86C4520 C900000D
	ds_read_b32 v202, v13 offset:17952                         // 000000008248: D86C4620 CA00000D
	ds_read_b32 v203, v13 offset:18208                         // 000000008250: D86C4720 CB00000D
	ds_read_b32 v204, v13 offset:18464                         // 000000008258: D86C4820 CC00000D
	ds_read_b32 v205, v13 offset:18720                         // 000000008260: D86C4920 CD00000D
	ds_read_b32 v206, v13 offset:18976                         // 000000008268: D86C4A20 CE00000D
	ds_read_b32 v207, v13 offset:19232                         // 000000008270: D86C4B20 CF00000D
	ds_read_b32 v208, v13 offset:17472                         // 000000008278: D86C4440 D000000D
	ds_read_b32 v209, v13 offset:17728                         // 000000008280: D86C4540 D100000D
	ds_read_b32 v210, v13 offset:17984                         // 000000008288: D86C4640 D200000D
	ds_read_b32 v211, v13 offset:18240                         // 000000008290: D86C4740 D300000D
	ds_read_b32 v212, v13 offset:18496                         // 000000008298: D86C4840 D400000D
	ds_read_b32 v213, v13 offset:18752                         // 0000000082A0: D86C4940 D500000D
	ds_read_b32 v214, v13 offset:19008                         // 0000000082A8: D86C4A40 D600000D
	ds_read_b32 v215, v13 offset:19264                         // 0000000082B0: D86C4B40 D700000D
	ds_read_b32 v216, v13 offset:17504                         // 0000000082B8: D86C4460 D800000D
	ds_read_b32 v217, v13 offset:17760                         // 0000000082C0: D86C4560 D900000D
	ds_read_b32 v218, v13 offset:18016                         // 0000000082C8: D86C4660 DA00000D
	ds_read_b32 v219, v13 offset:18272                         // 0000000082D0: D86C4760 DB00000D
	ds_read_b32 v220, v13 offset:18528                         // 0000000082D8: D86C4860 DC00000D
	ds_read_b32 v221, v13 offset:18784                         // 0000000082E0: D86C4960 DD00000D
	ds_read_b32 v222, v13 offset:19040                         // 0000000082E8: D86C4A60 DE00000D
	ds_read_b32 v223, v13 offset:19296                         // 0000000082F0: D86C4B60 DF00000D
	v_exp_f32_e32 v56, v56                                     // 0000000082F8: 7E704138
	v_exp_f32_e32 v57, v57                                     // 0000000082FC: 7E724139
	v_exp_f32_e32 v58, v58                                     // 000000008300: 7E74413A
	v_exp_f32_e32 v59, v59                                     // 000000008304: 7E76413B
	v_exp_f32_e32 v60, v60                                     // 000000008308: 7E78413C
	v_exp_f32_e32 v61, v61                                     // 00000000830C: 7E7A413D
	v_exp_f32_e32 v62, v62                                     // 000000008310: 7E7C413E
	v_exp_f32_e32 v63, v63                                     // 000000008314: 7E7E413F
	v_exp_f32_e32 v64, v64                                     // 000000008318: 7E804140
	v_exp_f32_e32 v65, v65                                     // 00000000831C: 7E824141
	v_exp_f32_e32 v66, v66                                     // 000000008320: 7E844142
	v_exp_f32_e32 v67, v67                                     // 000000008324: 7E864143
	v_exp_f32_e32 v68, v68                                     // 000000008328: 7E884144
	v_exp_f32_e32 v69, v69                                     // 00000000832C: 7E8A4145
	v_exp_f32_e32 v70, v70                                     // 000000008330: 7E8C4146
	v_exp_f32_e32 v71, v71                                     // 000000008334: 7E8E4147
	v_exp_f32_e32 v72, v72                                     // 000000008338: 7E904148
	v_exp_f32_e32 v73, v73                                     // 00000000833C: 7E924149
	v_exp_f32_e32 v74, v74                                     // 000000008340: 7E94414A
	v_exp_f32_e32 v75, v75                                     // 000000008344: 7E96414B
	v_exp_f32_e32 v76, v76                                     // 000000008348: 7E98414C
	v_exp_f32_e32 v77, v77                                     // 00000000834C: 7E9A414D
	v_exp_f32_e32 v78, v78                                     // 000000008350: 7E9C414E
	v_exp_f32_e32 v79, v79                                     // 000000008354: 7E9E414F
	v_mul_f32_e32 v22, v20, v22                                // 000000008358: 0A2C2D14
	v_add_f32_e32 v38, v49, v48                                // 00000000835C: 024C6131
	v_add_f32_e32 v38, v50, v38                                // 000000008360: 024C4D32
	v_add_f32_e32 v38, v51, v38                                // 000000008364: 024C4D33
	v_add_f32_e32 v38, v52, v38                                // 000000008368: 024C4D34
	v_add_f32_e32 v38, v53, v38                                // 00000000836C: 024C4D35
	v_add_f32_e32 v38, v54, v38                                // 000000008370: 024C4D36
	v_add_f32_e32 v38, v55, v38                                // 000000008374: 024C4D37
	v_add_f32_e32 v38, v56, v38                                // 000000008378: 024C4D38
	v_add_f32_e32 v38, v57, v38                                // 00000000837C: 024C4D39
	v_add_f32_e32 v38, v58, v38                                // 000000008380: 024C4D3A
	v_add_f32_e32 v38, v59, v38                                // 000000008384: 024C4D3B
	v_add_f32_e32 v38, v60, v38                                // 000000008388: 024C4D3C
	v_add_f32_e32 v38, v61, v38                                // 00000000838C: 024C4D3D
	v_add_f32_e32 v38, v62, v38                                // 000000008390: 024C4D3E
	v_add_f32_e32 v38, v63, v38                                // 000000008394: 024C4D3F
	v_add_f32_e32 v38, v64, v38                                // 000000008398: 024C4D40
	v_add_f32_e32 v38, v65, v38                                // 00000000839C: 024C4D41
	v_add_f32_e32 v38, v66, v38                                // 0000000083A0: 024C4D42
	v_add_f32_e32 v38, v67, v38                                // 0000000083A4: 024C4D43
	v_add_f32_e32 v38, v68, v38                                // 0000000083A8: 024C4D44
	v_add_f32_e32 v38, v69, v38                                // 0000000083AC: 024C4D45
	v_add_f32_e32 v38, v70, v38                                // 0000000083B0: 024C4D46
	v_add_f32_e32 v38, v71, v38                                // 0000000083B4: 024C4D47
	v_add_f32_e32 v38, v72, v38                                // 0000000083B8: 024C4D48
	v_add_f32_e32 v38, v73, v38                                // 0000000083BC: 024C4D49
	v_add_f32_e32 v38, v74, v38                                // 0000000083C0: 024C4D4A
	v_add_f32_e32 v38, v75, v38                                // 0000000083C4: 024C4D4B
	v_add_f32_e32 v38, v76, v38                                // 0000000083C8: 024C4D4C
	v_add_f32_e32 v38, v77, v38                                // 0000000083CC: 024C4D4D
	v_add_f32_e32 v38, v78, v38                                // 0000000083D0: 024C4D4E
	v_add_f32_e32 v38, v79, v38                                // 0000000083D4: 024C4D4F
	v_add_f32_e32 v22, v38, v22                                // 0000000083D8: 022C2D26
	v_cvt_pk_fp8_f32 v48, v48, v49                             // 0000000083DC: D2A20030 00026330
	v_cvt_pk_fp8_f32 v48, v50, v51 op_sel:[0,0,1]              // 0000000083E4: D2A24030 00026732
	v_cvt_pk_fp8_f32 v49, v52, v53                             // 0000000083EC: D2A20031 00026B34
	v_cvt_pk_fp8_f32 v49, v54, v55 op_sel:[0,0,1]              // 0000000083F4: D2A24031 00026F36
	v_cvt_pk_fp8_f32 v50, v56, v57                             // 0000000083FC: D2A20032 00027338
	v_cvt_pk_fp8_f32 v50, v58, v59 op_sel:[0,0,1]              // 000000008404: D2A24032 0002773A
	v_cvt_pk_fp8_f32 v51, v60, v61                             // 00000000840C: D2A20033 00027B3C
	v_cvt_pk_fp8_f32 v51, v62, v63 op_sel:[0,0,1]              // 000000008414: D2A24033 00027F3E
	v_cvt_pk_fp8_f32 v52, v64, v65                             // 00000000841C: D2A20034 00028340
	v_cvt_pk_fp8_f32 v52, v66, v67 op_sel:[0,0,1]              // 000000008424: D2A24034 00028742
	v_cvt_pk_fp8_f32 v53, v68, v69                             // 00000000842C: D2A20035 00028B44
	v_cvt_pk_fp8_f32 v53, v70, v71 op_sel:[0,0,1]              // 000000008434: D2A24035 00028F46
	v_cvt_pk_fp8_f32 v54, v72, v73                             // 00000000843C: D2A20036 00029348
	v_cvt_pk_fp8_f32 v54, v74, v75 op_sel:[0,0,1]              // 000000008444: D2A24036 0002974A
	v_cvt_pk_fp8_f32 v55, v76, v77                             // 00000000844C: D2A20037 00029B4C
	v_cvt_pk_fp8_f32 v55, v78, v79 op_sel:[0,0,1]              // 000000008454: D2A24037 00029F4E
	v_mov_b32_e32 v21, v20                                     // 00000000845C: 7E2A0314
	v_mul_f32_e32 v112, v20, v112                              // 000000008460: 0AE0E114
	v_mul_f32_e32 v113, v20, v113                              // 000000008464: 0AE2E314
	v_pk_mul_f32 v[114:115], v[20:21], v[114:115]              // 000000008468: D3B14072 1802E514
	v_pk_mul_f32 v[116:117], v[20:21], v[116:117]              // 000000008470: D3B14074 1802E914
	v_pk_mul_f32 v[118:119], v[20:21], v[118:119]              // 000000008478: D3B14076 1802ED14
	v_pk_mul_f32 v[120:121], v[20:21], v[120:121]              // 000000008480: D3B14078 1802F114
	v_pk_mul_f32 v[122:123], v[20:21], v[122:123]              // 000000008488: D3B1407A 1802F514
	v_pk_mul_f32 v[124:125], v[20:21], v[124:125]              // 000000008490: D3B1407C 1802F914
	v_pk_mul_f32 v[126:127], v[20:21], v[126:127]              // 000000008498: D3B1407E 1802FD14
	v_pk_mul_f32 v[128:129], v[20:21], v[128:129]              // 0000000084A0: D3B14080 18030114
	v_pk_mul_f32 v[130:131], v[20:21], v[130:131]              // 0000000084A8: D3B14082 18030514
	v_pk_mul_f32 v[132:133], v[20:21], v[132:133]              // 0000000084B0: D3B14084 18030914
	v_pk_mul_f32 v[134:135], v[20:21], v[134:135]              // 0000000084B8: D3B14086 18030D14
	v_pk_mul_f32 v[136:137], v[20:21], v[136:137]              // 0000000084C0: D3B14088 18031114
	v_pk_mul_f32 v[138:139], v[20:21], v[138:139]              // 0000000084C8: D3B1408A 18031514
	v_pk_mul_f32 v[140:141], v[20:21], v[140:141]              // 0000000084D0: D3B1408C 18031914
	v_pk_mul_f32 v[142:143], v[20:21], v[142:143]              // 0000000084D8: D3B1408E 18031D14
	v_pk_mul_f32 v[144:145], v[20:21], v[144:145]              // 0000000084E0: D3B14090 18032114
	v_pk_mul_f32 v[146:147], v[20:21], v[146:147]              // 0000000084E8: D3B14092 18032514
	v_pk_mul_f32 v[148:149], v[20:21], v[148:149]              // 0000000084F0: D3B14094 18032914
	v_pk_mul_f32 v[150:151], v[20:21], v[150:151]              // 0000000084F8: D3B14096 18032D14
	v_pk_mul_f32 v[152:153], v[20:21], v[152:153]              // 000000008500: D3B14098 18033114
	v_pk_mul_f32 v[154:155], v[20:21], v[154:155]              // 000000008508: D3B1409A 18033514
	v_pk_mul_f32 v[156:157], v[20:21], v[156:157]              // 000000008510: D3B1409C 18033914
	v_pk_mul_f32 v[158:159], v[20:21], v[158:159]              // 000000008518: D3B1409E 18033D14
	v_pk_mul_f32 v[160:161], v[20:21], v[160:161]              // 000000008520: D3B140A0 18034114
	v_pk_mul_f32 v[162:163], v[20:21], v[162:163]              // 000000008528: D3B140A2 18034514
	v_pk_mul_f32 v[164:165], v[20:21], v[164:165]              // 000000008530: D3B140A4 18034914
	v_pk_mul_f32 v[166:167], v[20:21], v[166:167]              // 000000008538: D3B140A6 18034D14
	v_pk_mul_f32 v[168:169], v[20:21], v[168:169]              // 000000008540: D3B140A8 18035114
	v_pk_mul_f32 v[170:171], v[20:21], v[170:171]              // 000000008548: D3B140AA 18035514
	v_pk_mul_f32 v[172:173], v[20:21], v[172:173]              // 000000008550: D3B140AC 18035914
	v_pk_mul_f32 v[174:175], v[20:21], v[174:175]              // 000000008558: D3B140AE 18035D14
	s_waitcnt lgkmcnt(0)                                       // 000000008560: BF8CC07F
	s_nop 0                                                    // 000000008564: BF800000
	v_mfma_f32_32x32x16_fp8_fp8 v[112:127], v[192:193], v[48:49], v[112:127]// 000000008568: D3F70070 05C261C0
	v_mfma_f32_32x32x16_fp8_fp8 v[112:127], v[194:195], v[50:51], v[112:127]// 000000008570: D3F70070 05C265C2
	v_mfma_f32_32x32x16_fp8_fp8 v[112:127], v[196:197], v[52:53], v[112:127]// 000000008578: D3F70070 05C269C4
	v_mfma_f32_32x32x16_fp8_fp8 v[112:127], v[198:199], v[54:55], v[112:127]// 000000008580: D3F70070 05C26DC6
	v_mfma_f32_32x32x16_fp8_fp8 v[128:143], v[200:201], v[48:49], v[128:143]// 000000008588: D3F70080 060261C8
	v_mfma_f32_32x32x16_fp8_fp8 v[128:143], v[202:203], v[50:51], v[128:143]// 000000008590: D3F70080 060265CA
	v_mfma_f32_32x32x16_fp8_fp8 v[128:143], v[204:205], v[52:53], v[128:143]// 000000008598: D3F70080 060269CC
	v_mfma_f32_32x32x16_fp8_fp8 v[128:143], v[206:207], v[54:55], v[128:143]// 0000000085A0: D3F70080 06026DCE
	v_mfma_f32_32x32x16_fp8_fp8 v[144:159], v[208:209], v[48:49], v[144:159]// 0000000085A8: D3F70090 064261D0
	v_mfma_f32_32x32x16_fp8_fp8 v[144:159], v[210:211], v[50:51], v[144:159]// 0000000085B0: D3F70090 064265D2
	v_mfma_f32_32x32x16_fp8_fp8 v[144:159], v[212:213], v[52:53], v[144:159]// 0000000085B8: D3F70090 064269D4
	v_mfma_f32_32x32x16_fp8_fp8 v[144:159], v[214:215], v[54:55], v[144:159]// 0000000085C0: D3F70090 06426DD6
	v_mfma_f32_32x32x16_fp8_fp8 v[160:175], v[216:217], v[48:49], v[160:175]// 0000000085C8: D3F700A0 068261D8
	v_mfma_f32_32x32x16_fp8_fp8 v[160:175], v[218:219], v[50:51], v[160:175]// 0000000085D0: D3F700A0 068265DA
	v_mfma_f32_32x32x16_fp8_fp8 v[160:175], v[220:221], v[52:53], v[160:175]// 0000000085D8: D3F700A0 068269DC
	v_mfma_f32_32x32x16_fp8_fp8 v[160:175], v[222:223], v[54:55], v[160:175]// 0000000085E0: D3F700A0 06826DDE

00000000000085e8 <label_12BA>:
	s_nop 0                                                    // 0000000085E8: BF800000
	v_cvt_f32_u32_e32 v16, s41                                 // 0000000085EC: 7E200C29
	s_sub_i32 s34, 0, s41                                      // 0000000085F0: 81A22980
	v_rcp_iflag_f32_e32 v16, v16                               // 0000000085F4: 7E204710
	s_nop 0                                                    // 0000000085F8: BF800000
	v_mul_f32_e32 v16, 0x4f7ffffe, v16                         // 0000000085FC: 0A2020FF 4F7FFFFE
	v_cvt_u32_f32_e32 v16, v16                                 // 000000008604: 7E200F10
	v_mul_lo_u32 v17, s34, v16                                 // 000000008608: D2850011 00022022
	v_mul_hi_u32 v17, v16, v17                                 // 000000008610: D2860011 00022310
	v_add_u32_e32 v16, v16, v17                                // 000000008618: 68202310
	v_mul_hi_u32 v16, s42, v16                                 // 00000000861C: D2860010 0002202A
	v_mul_lo_u32 v17, v16, s41                                 // 000000008624: D2850011 00005310
	v_sub_u32_e32 v19, s42, v17                                // 00000000862C: 6A26222A
	v_add_u32_e32 v18, 1, v16                                  // 000000008630: 68242081
	v_cmp_le_u32_e32 vcc, s41, v19                             // 000000008634: 7D962629
	v_subrev_u32_e32 v17, s41, v19                             // 000000008638: 6C222629
	s_nop 0                                                    // 00000000863C: BF800000
	v_cndmask_b32_e32 v16, v16, v18, vcc                       // 000000008640: 00202510
	v_cndmask_b32_e32 v19, v19, v17, vcc                       // 000000008644: 00262313
	v_add_u32_e32 v17, 1, v16                                  // 000000008648: 68222081
	v_cmp_le_u32_e32 vcc, s41, v19                             // 00000000864C: 7D962629
	s_nop 1                                                    // 000000008650: BF800001
	v_cndmask_b32_e32 v19, v16, v17, vcc                       // 000000008654: 00262310
	s_nop 3                                                    // 000000008658: BF800003
	v_readfirstlane_b32 s42, v19                               // 00000000865C: 7E540513
	s_nop 3                                                    // 000000008660: BF800003
	s_mul_i32 s42, s42, s44                                    // 000000008664: 922A2C2A
	v_lshrrev_b32_e32 v16, 3, v0                               // 000000008668: 20200083
	v_mul_i32_i24_e32 v8, s44, v16                             // 00000000866C: 0C10202C
	v_and_b32_e32 v16, 7, v0                                   // 000000008670: 26200087
	v_mul_i32_i24_e32 v16, 16, v16                             // 000000008674: 0C202090
	v_add_u32_e32 v8, v16, v8                                  // 000000008678: 68101110
	s_mul_i32 s34, s5, s44                                     // 00000000867C: 92222C05
	s_mul_i32 s34, s34, 32                                     // 000000008680: 9222A022
	s_add_u32 s34, s42, s34                                    // 000000008684: 8022222A
	v_add_u32_e32 v8, s34, v8                                  // 000000008688: 68101022
	s_mul_i32 s34, s44, 8                                      // 00000000868C: 9222882C
	v_add_u32_e32 v9, s34, v8                                  // 000000008690: 68121022
	v_add_u32_e32 v10, s34, v9                                 // 000000008694: 68141222
	v_add_u32_e32 v11, s34, v10                                // 000000008698: 68161422
	s_mul_i32 s34, s2, 0x100                                   // 00000000869C: 9222FF02 00000100
	v_and_b32_e32 v3, 31, v0                                   // 0000000086A4: 2606009F
	v_add_u32_e32 v3, s34, v3                                  // 0000000086A8: 68060622
	s_mul_i32 s34, s5, 32                                      // 0000000086AC: 9222A005
	v_add_u32_e32 v3, s34, v3                                  // 0000000086B0: 68060622
	v_lshlrev_b32_e32 v3, 2, v3                                // 0000000086B4: 24060682
	ds_permute_b32 v16, v32, v22                               // 0000000086B8: D87C0000 10001620
	s_waitcnt lgkmcnt(0)                                       // 0000000086C0: BF8CC07F
	v_add_f32_e32 v22, v16, v22                                // 0000000086C4: 022C2D10
	v_mul_f32_e64 v16, v28, s28                                // 0000000086C8: D1050010 0000391C
	v_log_f32_e32 v17, v22                                     // 0000000086D0: 7E224316
	v_cmp_eq_f32_e64 s[34:35], v22, 0                          // 0000000086D4: D0420022 00010116
	s_nop 1                                                    // 0000000086DC: BF800001
	v_rcp_f32_e32 v22, v22                                     // 0000000086E0: 7E2C4516
	s_nop 1                                                    // 0000000086E4: BF800001
	v_cndmask_b32_e64 v22, v22, 0, s[34:35]                    // 0000000086E8: D1000016 00890116
	v_fma_f32 v2, v17, s66, v16                                // 0000000086F0: D1CB0002 04408511
	v_mul_f32_e32 v22, s39, v22                                // 0000000086F8: 0A2C2C27
	v_mov_b32_e32 v23, v22                                     // 0000000086FC: 7E2E0316
	v_lshrrev_b32_e32 v16, 5, v0                               // 000000008700: 20200085
	v_mul_i32_i24_e32 v35, 0x42, v16                           // 000000008704: 0C4620FF 00000042
	v_and_b32_e32 v16, 31, v0                                  // 00000000870C: 2620009F
	v_mul_i32_i24_e32 v16, 2, v16                              // 000000008710: 0C202082
	v_add_u32_e32 v35, v16, v35                                // 000000008714: 68464710
	s_mul_i32 s34, s5, 0x420                                   // 000000008718: 9222FF05 00000420
	v_add_u32_e32 v35, s34, v35                                // 000000008720: 68464622
	v_lshlrev_b32_e32 v35, 2, v35                              // 000000008724: 24464682
	v_lshrrev_b32_e32 v16, 3, v0                               // 000000008728: 20200083
	v_mul_i32_i24_e32 v34, 2, v16                              // 00000000872C: 0C442082
	v_and_b32_e32 v16, 7, v0                                   // 000000008730: 26200087
	v_mul_i32_i24_e32 v16, 0x84, v16                           // 000000008734: 0C2020FF 00000084
	v_add_u32_e32 v34, v16, v34                                // 00000000873C: 68444510
	s_mul_i32 s34, s5, 0x420                                   // 000000008740: 9222FF05 00000420
	v_add_u32_e32 v34, s34, v34                                // 000000008748: 68444422
	v_lshlrev_b32_e32 v34, 2, v34                              // 00000000874C: 24444482
	s_waitcnt vmcnt(0) expcnt(0) lgkmcnt(0)                    // 000000008750: BF8C0000
	s_barrier                                                  // 000000008754: BF8A0000
	v_pk_mul_f32 v[112:113], v[22:23], v[112:113]              // 000000008758: D3B14070 1802E116
	v_pk_mul_f32 v[114:115], v[22:23], v[114:115]              // 000000008760: D3B14072 1802E516
	v_pk_mul_f32 v[116:117], v[22:23], v[116:117]              // 000000008768: D3B14074 1802E916
	v_pk_mul_f32 v[118:119], v[22:23], v[118:119]              // 000000008770: D3B14076 1802ED16
	v_pk_mul_f32 v[120:121], v[22:23], v[120:121]              // 000000008778: D3B14078 1802F116
	v_pk_mul_f32 v[122:123], v[22:23], v[122:123]              // 000000008780: D3B1407A 1802F516
	v_pk_mul_f32 v[124:125], v[22:23], v[124:125]              // 000000008788: D3B1407C 1802F916
	v_pk_mul_f32 v[126:127], v[22:23], v[126:127]              // 000000008790: D3B1407E 1802FD16
	v_pk_mul_f32 v[128:129], v[22:23], v[128:129]              // 000000008798: D3B14080 18030116
	v_pk_mul_f32 v[130:131], v[22:23], v[130:131]              // 0000000087A0: D3B14082 18030516
	v_pk_mul_f32 v[132:133], v[22:23], v[132:133]              // 0000000087A8: D3B14084 18030916
	v_pk_mul_f32 v[134:135], v[22:23], v[134:135]              // 0000000087B0: D3B14086 18030D16
	v_pk_mul_f32 v[136:137], v[22:23], v[136:137]              // 0000000087B8: D3B14088 18031116
	v_pk_mul_f32 v[138:139], v[22:23], v[138:139]              // 0000000087C0: D3B1408A 18031516
	v_pk_mul_f32 v[140:141], v[22:23], v[140:141]              // 0000000087C8: D3B1408C 18031916
	v_pk_mul_f32 v[142:143], v[22:23], v[142:143]              // 0000000087D0: D3B1408E 18031D16
	v_cmp_u_f32_e64 s[58:59], v112, v112                       // 0000000087D8: D048003A 0002E170
	v_add3_u32 v40, v112, v43, 1                               // 0000000087E0: D1FF0028 02065770
	v_cndmask_b32_e64 v16, v40, v42, s[58:59]                  // 0000000087E8: D1000010 00EA5528
	v_cmp_u_f32_e64 s[58:59], v113, v113                       // 0000000087F0: D048003A 0002E371
	v_add3_u32 v40, v113, v43, 1                               // 0000000087F8: D1FF0028 02065771
	v_cndmask_b32_e64 v17, v40, v42, s[58:59]                  // 000000008800: D1000011 00EA5528
	v_perm_b32 v112, v17, v16, s67                             // 000000008808: D1ED0070 010E2111
	v_cmp_u_f32_e64 s[58:59], v114, v114                       // 000000008810: D048003A 0002E572
	v_add3_u32 v40, v114, v43, 1                               // 000000008818: D1FF0028 02065772
	v_cndmask_b32_e64 v16, v40, v42, s[58:59]                  // 000000008820: D1000010 00EA5528
	v_cmp_u_f32_e64 s[58:59], v115, v115                       // 000000008828: D048003A 0002E773
	v_add3_u32 v40, v115, v43, 1                               // 000000008830: D1FF0028 02065773
	v_cndmask_b32_e64 v17, v40, v42, s[58:59]                  // 000000008838: D1000011 00EA5528
	v_perm_b32 v113, v17, v16, s67                             // 000000008840: D1ED0071 010E2111
	v_cmp_u_f32_e64 s[58:59], v116, v116                       // 000000008848: D048003A 0002E974
	v_add3_u32 v40, v116, v43, 1                               // 000000008850: D1FF0028 02065774
	v_cndmask_b32_e64 v16, v40, v42, s[58:59]                  // 000000008858: D1000010 00EA5528
	v_cmp_u_f32_e64 s[58:59], v117, v117                       // 000000008860: D048003A 0002EB75
	v_add3_u32 v40, v117, v43, 1                               // 000000008868: D1FF0028 02065775
	v_cndmask_b32_e64 v17, v40, v42, s[58:59]                  // 000000008870: D1000011 00EA5528
	v_perm_b32 v114, v17, v16, s67                             // 000000008878: D1ED0072 010E2111
	v_cmp_u_f32_e64 s[58:59], v118, v118                       // 000000008880: D048003A 0002ED76
	v_add3_u32 v40, v118, v43, 1                               // 000000008888: D1FF0028 02065776
	v_cndmask_b32_e64 v16, v40, v42, s[58:59]                  // 000000008890: D1000010 00EA5528
	v_cmp_u_f32_e64 s[58:59], v119, v119                       // 000000008898: D048003A 0002EF77
	v_add3_u32 v40, v119, v43, 1                               // 0000000088A0: D1FF0028 02065777
	v_cndmask_b32_e64 v17, v40, v42, s[58:59]                  // 0000000088A8: D1000011 00EA5528
	v_perm_b32 v115, v17, v16, s67                             // 0000000088B0: D1ED0073 010E2111
	v_cmp_u_f32_e64 s[58:59], v120, v120                       // 0000000088B8: D048003A 0002F178
	v_add3_u32 v40, v120, v43, 1                               // 0000000088C0: D1FF0028 02065778
	v_cndmask_b32_e64 v16, v40, v42, s[58:59]                  // 0000000088C8: D1000010 00EA5528
	v_cmp_u_f32_e64 s[58:59], v121, v121                       // 0000000088D0: D048003A 0002F379
	v_add3_u32 v40, v121, v43, 1                               // 0000000088D8: D1FF0028 02065779
	v_cndmask_b32_e64 v17, v40, v42, s[58:59]                  // 0000000088E0: D1000011 00EA5528
	v_perm_b32 v116, v17, v16, s67                             // 0000000088E8: D1ED0074 010E2111
	v_cmp_u_f32_e64 s[58:59], v122, v122                       // 0000000088F0: D048003A 0002F57A
	v_add3_u32 v40, v122, v43, 1                               // 0000000088F8: D1FF0028 0206577A
	v_cndmask_b32_e64 v16, v40, v42, s[58:59]                  // 000000008900: D1000010 00EA5528
	v_cmp_u_f32_e64 s[58:59], v123, v123                       // 000000008908: D048003A 0002F77B
	v_add3_u32 v40, v123, v43, 1                               // 000000008910: D1FF0028 0206577B
	v_cndmask_b32_e64 v17, v40, v42, s[58:59]                  // 000000008918: D1000011 00EA5528
	v_perm_b32 v117, v17, v16, s67                             // 000000008920: D1ED0075 010E2111
	v_cmp_u_f32_e64 s[58:59], v124, v124                       // 000000008928: D048003A 0002F97C
	v_add3_u32 v40, v124, v43, 1                               // 000000008930: D1FF0028 0206577C
	v_cndmask_b32_e64 v16, v40, v42, s[58:59]                  // 000000008938: D1000010 00EA5528
	v_cmp_u_f32_e64 s[58:59], v125, v125                       // 000000008940: D048003A 0002FB7D
	v_add3_u32 v40, v125, v43, 1                               // 000000008948: D1FF0028 0206577D
	v_cndmask_b32_e64 v17, v40, v42, s[58:59]                  // 000000008950: D1000011 00EA5528
	v_perm_b32 v118, v17, v16, s67                             // 000000008958: D1ED0076 010E2111
	v_cmp_u_f32_e64 s[58:59], v126, v126                       // 000000008960: D048003A 0002FD7E
	v_add3_u32 v40, v126, v43, 1                               // 000000008968: D1FF0028 0206577E
	v_cndmask_b32_e64 v16, v40, v42, s[58:59]                  // 000000008970: D1000010 00EA5528
	v_cmp_u_f32_e64 s[58:59], v127, v127                       // 000000008978: D048003A 0002FF7F
	v_add3_u32 v40, v127, v43, 1                               // 000000008980: D1FF0028 0206577F
	v_cndmask_b32_e64 v17, v40, v42, s[58:59]                  // 000000008988: D1000011 00EA5528
	v_perm_b32 v119, v17, v16, s67                             // 000000008990: D1ED0077 010E2111
	v_cmp_u_f32_e64 s[58:59], v128, v128                       // 000000008998: D048003A 00030180
	v_add3_u32 v40, v128, v43, 1                               // 0000000089A0: D1FF0028 02065780
	v_cndmask_b32_e64 v16, v40, v42, s[58:59]                  // 0000000089A8: D1000010 00EA5528
	v_cmp_u_f32_e64 s[58:59], v129, v129                       // 0000000089B0: D048003A 00030381
	v_add3_u32 v40, v129, v43, 1                               // 0000000089B8: D1FF0028 02065781
	v_cndmask_b32_e64 v17, v40, v42, s[58:59]                  // 0000000089C0: D1000011 00EA5528
	v_perm_b32 v120, v17, v16, s67                             // 0000000089C8: D1ED0078 010E2111
	v_cmp_u_f32_e64 s[58:59], v130, v130                       // 0000000089D0: D048003A 00030582
	v_add3_u32 v40, v130, v43, 1                               // 0000000089D8: D1FF0028 02065782
	v_cndmask_b32_e64 v16, v40, v42, s[58:59]                  // 0000000089E0: D1000010 00EA5528
	v_cmp_u_f32_e64 s[58:59], v131, v131                       // 0000000089E8: D048003A 00030783
	v_add3_u32 v40, v131, v43, 1                               // 0000000089F0: D1FF0028 02065783
	v_cndmask_b32_e64 v17, v40, v42, s[58:59]                  // 0000000089F8: D1000011 00EA5528
	v_perm_b32 v121, v17, v16, s67                             // 000000008A00: D1ED0079 010E2111
	v_cmp_u_f32_e64 s[58:59], v132, v132                       // 000000008A08: D048003A 00030984
	v_add3_u32 v40, v132, v43, 1                               // 000000008A10: D1FF0028 02065784
	v_cndmask_b32_e64 v16, v40, v42, s[58:59]                  // 000000008A18: D1000010 00EA5528
	v_cmp_u_f32_e64 s[58:59], v133, v133                       // 000000008A20: D048003A 00030B85
	v_add3_u32 v40, v133, v43, 1                               // 000000008A28: D1FF0028 02065785
	v_cndmask_b32_e64 v17, v40, v42, s[58:59]                  // 000000008A30: D1000011 00EA5528
	v_perm_b32 v122, v17, v16, s67                             // 000000008A38: D1ED007A 010E2111
	v_cmp_u_f32_e64 s[58:59], v134, v134                       // 000000008A40: D048003A 00030D86
	v_add3_u32 v40, v134, v43, 1                               // 000000008A48: D1FF0028 02065786
	v_cndmask_b32_e64 v16, v40, v42, s[58:59]                  // 000000008A50: D1000010 00EA5528
	v_cmp_u_f32_e64 s[58:59], v135, v135                       // 000000008A58: D048003A 00030F87
	v_add3_u32 v40, v135, v43, 1                               // 000000008A60: D1FF0028 02065787
	v_cndmask_b32_e64 v17, v40, v42, s[58:59]                  // 000000008A68: D1000011 00EA5528
	v_perm_b32 v123, v17, v16, s67                             // 000000008A70: D1ED007B 010E2111
	v_cmp_u_f32_e64 s[58:59], v136, v136                       // 000000008A78: D048003A 00031188
	v_add3_u32 v40, v136, v43, 1                               // 000000008A80: D1FF0028 02065788
	v_cndmask_b32_e64 v16, v40, v42, s[58:59]                  // 000000008A88: D1000010 00EA5528
	v_cmp_u_f32_e64 s[58:59], v137, v137                       // 000000008A90: D048003A 00031389
	v_add3_u32 v40, v137, v43, 1                               // 000000008A98: D1FF0028 02065789
	v_cndmask_b32_e64 v17, v40, v42, s[58:59]                  // 000000008AA0: D1000011 00EA5528
	v_perm_b32 v124, v17, v16, s67                             // 000000008AA8: D1ED007C 010E2111
	v_cmp_u_f32_e64 s[58:59], v138, v138                       // 000000008AB0: D048003A 0003158A
	v_add3_u32 v40, v138, v43, 1                               // 000000008AB8: D1FF0028 0206578A
	v_cndmask_b32_e64 v16, v40, v42, s[58:59]                  // 000000008AC0: D1000010 00EA5528
	v_cmp_u_f32_e64 s[58:59], v139, v139                       // 000000008AC8: D048003A 0003178B
	v_add3_u32 v40, v139, v43, 1                               // 000000008AD0: D1FF0028 0206578B
	v_cndmask_b32_e64 v17, v40, v42, s[58:59]                  // 000000008AD8: D1000011 00EA5528
	v_perm_b32 v125, v17, v16, s67                             // 000000008AE0: D1ED007D 010E2111
	v_cmp_u_f32_e64 s[58:59], v140, v140                       // 000000008AE8: D048003A 0003198C
	v_add3_u32 v40, v140, v43, 1                               // 000000008AF0: D1FF0028 0206578C
	v_cndmask_b32_e64 v16, v40, v42, s[58:59]                  // 000000008AF8: D1000010 00EA5528
	v_cmp_u_f32_e64 s[58:59], v141, v141                       // 000000008B00: D048003A 00031B8D
	v_add3_u32 v40, v141, v43, 1                               // 000000008B08: D1FF0028 0206578D
	v_cndmask_b32_e64 v17, v40, v42, s[58:59]                  // 000000008B10: D1000011 00EA5528
	v_perm_b32 v126, v17, v16, s67                             // 000000008B18: D1ED007E 010E2111
	v_cmp_u_f32_e64 s[58:59], v142, v142                       // 000000008B20: D048003A 00031D8E
	v_add3_u32 v40, v142, v43, 1                               // 000000008B28: D1FF0028 0206578E
	v_cndmask_b32_e64 v16, v40, v42, s[58:59]                  // 000000008B30: D1000010 00EA5528
	v_cmp_u_f32_e64 s[58:59], v143, v143                       // 000000008B38: D048003A 00031F8F
	v_add3_u32 v40, v143, v43, 1                               // 000000008B40: D1FF0028 0206578F
	v_cndmask_b32_e64 v17, v40, v42, s[58:59]                  // 000000008B48: D1000011 00EA5528
	v_perm_b32 v127, v17, v16, s67                             // 000000008B50: D1ED007F 010E2111
	ds_write_b64 v35, v[112:113]                               // 000000008B58: D89A0000 00007023
	ds_write_b64 v35, v[114:115] offset:528                    // 000000008B60: D89A0210 00007223
	ds_write_b64 v35, v[116:117] offset:1056                   // 000000008B68: D89A0420 00007423
	ds_write_b64 v35, v[118:119] offset:1584                   // 000000008B70: D89A0630 00007623
	ds_write_b64 v35, v[120:121] offset:2112                   // 000000008B78: D89A0840 00007823
	ds_write_b64 v35, v[122:123] offset:2640                   // 000000008B80: D89A0A50 00007A23
	ds_write_b64 v35, v[124:125] offset:3168                   // 000000008B88: D89A0C60 00007C23
	ds_write_b64 v35, v[126:127] offset:3696                   // 000000008B90: D89A0E70 00007E23
	s_waitcnt vmcnt(0) expcnt(0) lgkmcnt(0)                    // 000000008B98: BF8C0000
	ds_read_b64 v[112:113], v34                                // 000000008B9C: D8EC0000 70000022
	ds_read_b64 v[114:115], v34 offset:264                     // 000000008BA4: D8EC0108 72000022
	ds_read_b64 v[116:117], v34 offset:64                      // 000000008BAC: D8EC0040 74000022
	ds_read_b64 v[118:119], v34 offset:328                     // 000000008BB4: D8EC0148 76000022
	ds_read_b64 v[120:121], v34 offset:128                     // 000000008BBC: D8EC0080 78000022
	ds_read_b64 v[122:123], v34 offset:392                     // 000000008BC4: D8EC0188 7A000022
	ds_read_b64 v[124:125], v34 offset:192                     // 000000008BCC: D8EC00C0 7C000022
	ds_read_b64 v[126:127], v34 offset:456                     // 000000008BD4: D8EC01C8 7E000022
	s_waitcnt vmcnt(0) expcnt(0) lgkmcnt(0)                    // 000000008BDC: BF8C0000
	buffer_store_dwordx4 v[112:115], v8, s[20:23], 0 offen     // 000000008BE0: E07C1000 80057008
	buffer_store_dwordx4 v[116:119], v9, s[20:23], 0 offen     // 000000008BE8: E07C1000 80057409
	buffer_store_dwordx4 v[120:123], v10, s[20:23], 0 offen    // 000000008BF0: E07C1000 8005780A
	buffer_store_dwordx4 v[124:127], v11, s[20:23], 0 offen    // 000000008BF8: E07C1000 80057C0B
	v_pk_mul_f32 v[144:145], v[22:23], v[144:145]              // 000000008C00: D3B14090 18032116
	v_pk_mul_f32 v[146:147], v[22:23], v[146:147]              // 000000008C08: D3B14092 18032516
	v_pk_mul_f32 v[148:149], v[22:23], v[148:149]              // 000000008C10: D3B14094 18032916
	v_pk_mul_f32 v[150:151], v[22:23], v[150:151]              // 000000008C18: D3B14096 18032D16
	v_pk_mul_f32 v[152:153], v[22:23], v[152:153]              // 000000008C20: D3B14098 18033116
	v_pk_mul_f32 v[154:155], v[22:23], v[154:155]              // 000000008C28: D3B1409A 18033516
	v_pk_mul_f32 v[156:157], v[22:23], v[156:157]              // 000000008C30: D3B1409C 18033916
	v_pk_mul_f32 v[158:159], v[22:23], v[158:159]              // 000000008C38: D3B1409E 18033D16
	v_pk_mul_f32 v[160:161], v[22:23], v[160:161]              // 000000008C40: D3B140A0 18034116
	v_pk_mul_f32 v[162:163], v[22:23], v[162:163]              // 000000008C48: D3B140A2 18034516
	v_pk_mul_f32 v[164:165], v[22:23], v[164:165]              // 000000008C50: D3B140A4 18034916
	v_pk_mul_f32 v[166:167], v[22:23], v[166:167]              // 000000008C58: D3B140A6 18034D16
	v_pk_mul_f32 v[168:169], v[22:23], v[168:169]              // 000000008C60: D3B140A8 18035116
	v_pk_mul_f32 v[170:171], v[22:23], v[170:171]              // 000000008C68: D3B140AA 18035516
	v_pk_mul_f32 v[172:173], v[22:23], v[172:173]              // 000000008C70: D3B140AC 18035916
	v_pk_mul_f32 v[174:175], v[22:23], v[174:175]              // 000000008C78: D3B140AE 18035D16
	v_cmp_u_f32_e64 s[58:59], v144, v144                       // 000000008C80: D048003A 00032190
	v_add3_u32 v40, v144, v43, 1                               // 000000008C88: D1FF0028 02065790
	v_cndmask_b32_e64 v16, v40, v42, s[58:59]                  // 000000008C90: D1000010 00EA5528
	v_cmp_u_f32_e64 s[58:59], v145, v145                       // 000000008C98: D048003A 00032391
	v_add3_u32 v40, v145, v43, 1                               // 000000008CA0: D1FF0028 02065791
	v_cndmask_b32_e64 v17, v40, v42, s[58:59]                  // 000000008CA8: D1000011 00EA5528
	v_perm_b32 v144, v17, v16, s67                             // 000000008CB0: D1ED0090 010E2111
	v_cmp_u_f32_e64 s[58:59], v146, v146                       // 000000008CB8: D048003A 00032592
	v_add3_u32 v40, v146, v43, 1                               // 000000008CC0: D1FF0028 02065792
	v_cndmask_b32_e64 v16, v40, v42, s[58:59]                  // 000000008CC8: D1000010 00EA5528
	v_cmp_u_f32_e64 s[58:59], v147, v147                       // 000000008CD0: D048003A 00032793
	v_add3_u32 v40, v147, v43, 1                               // 000000008CD8: D1FF0028 02065793
	v_cndmask_b32_e64 v17, v40, v42, s[58:59]                  // 000000008CE0: D1000011 00EA5528
	v_perm_b32 v145, v17, v16, s67                             // 000000008CE8: D1ED0091 010E2111
	v_cmp_u_f32_e64 s[58:59], v148, v148                       // 000000008CF0: D048003A 00032994
	v_add3_u32 v40, v148, v43, 1                               // 000000008CF8: D1FF0028 02065794
	v_cndmask_b32_e64 v16, v40, v42, s[58:59]                  // 000000008D00: D1000010 00EA5528
	v_cmp_u_f32_e64 s[58:59], v149, v149                       // 000000008D08: D048003A 00032B95
	v_add3_u32 v40, v149, v43, 1                               // 000000008D10: D1FF0028 02065795
	v_cndmask_b32_e64 v17, v40, v42, s[58:59]                  // 000000008D18: D1000011 00EA5528
	v_perm_b32 v146, v17, v16, s67                             // 000000008D20: D1ED0092 010E2111
	v_cmp_u_f32_e64 s[58:59], v150, v150                       // 000000008D28: D048003A 00032D96
	v_add3_u32 v40, v150, v43, 1                               // 000000008D30: D1FF0028 02065796
	v_cndmask_b32_e64 v16, v40, v42, s[58:59]                  // 000000008D38: D1000010 00EA5528
	v_cmp_u_f32_e64 s[58:59], v151, v151                       // 000000008D40: D048003A 00032F97
	v_add3_u32 v40, v151, v43, 1                               // 000000008D48: D1FF0028 02065797
	v_cndmask_b32_e64 v17, v40, v42, s[58:59]                  // 000000008D50: D1000011 00EA5528
	v_perm_b32 v147, v17, v16, s67                             // 000000008D58: D1ED0093 010E2111
	v_cmp_u_f32_e64 s[58:59], v152, v152                       // 000000008D60: D048003A 00033198
	v_add3_u32 v40, v152, v43, 1                               // 000000008D68: D1FF0028 02065798
	v_cndmask_b32_e64 v16, v40, v42, s[58:59]                  // 000000008D70: D1000010 00EA5528
	v_cmp_u_f32_e64 s[58:59], v153, v153                       // 000000008D78: D048003A 00033399
	v_add3_u32 v40, v153, v43, 1                               // 000000008D80: D1FF0028 02065799
	v_cndmask_b32_e64 v17, v40, v42, s[58:59]                  // 000000008D88: D1000011 00EA5528
	v_perm_b32 v148, v17, v16, s67                             // 000000008D90: D1ED0094 010E2111
	v_cmp_u_f32_e64 s[58:59], v154, v154                       // 000000008D98: D048003A 0003359A
	v_add3_u32 v40, v154, v43, 1                               // 000000008DA0: D1FF0028 0206579A
	v_cndmask_b32_e64 v16, v40, v42, s[58:59]                  // 000000008DA8: D1000010 00EA5528
	v_cmp_u_f32_e64 s[58:59], v155, v155                       // 000000008DB0: D048003A 0003379B
	v_add3_u32 v40, v155, v43, 1                               // 000000008DB8: D1FF0028 0206579B
	v_cndmask_b32_e64 v17, v40, v42, s[58:59]                  // 000000008DC0: D1000011 00EA5528
	v_perm_b32 v149, v17, v16, s67                             // 000000008DC8: D1ED0095 010E2111
	v_cmp_u_f32_e64 s[58:59], v156, v156                       // 000000008DD0: D048003A 0003399C
	v_add3_u32 v40, v156, v43, 1                               // 000000008DD8: D1FF0028 0206579C
	v_cndmask_b32_e64 v16, v40, v42, s[58:59]                  // 000000008DE0: D1000010 00EA5528
	v_cmp_u_f32_e64 s[58:59], v157, v157                       // 000000008DE8: D048003A 00033B9D
	v_add3_u32 v40, v157, v43, 1                               // 000000008DF0: D1FF0028 0206579D
	v_cndmask_b32_e64 v17, v40, v42, s[58:59]                  // 000000008DF8: D1000011 00EA5528
	v_perm_b32 v150, v17, v16, s67                             // 000000008E00: D1ED0096 010E2111
	v_cmp_u_f32_e64 s[58:59], v158, v158                       // 000000008E08: D048003A 00033D9E
	v_add3_u32 v40, v158, v43, 1                               // 000000008E10: D1FF0028 0206579E
	v_cndmask_b32_e64 v16, v40, v42, s[58:59]                  // 000000008E18: D1000010 00EA5528
	v_cmp_u_f32_e64 s[58:59], v159, v159                       // 000000008E20: D048003A 00033F9F
	v_add3_u32 v40, v159, v43, 1                               // 000000008E28: D1FF0028 0206579F
	v_cndmask_b32_e64 v17, v40, v42, s[58:59]                  // 000000008E30: D1000011 00EA5528
	v_perm_b32 v151, v17, v16, s67                             // 000000008E38: D1ED0097 010E2111
	v_cmp_u_f32_e64 s[58:59], v160, v160                       // 000000008E40: D048003A 000341A0
	v_add3_u32 v40, v160, v43, 1                               // 000000008E48: D1FF0028 020657A0
	v_cndmask_b32_e64 v16, v40, v42, s[58:59]                  // 000000008E50: D1000010 00EA5528
	v_cmp_u_f32_e64 s[58:59], v161, v161                       // 000000008E58: D048003A 000343A1
	v_add3_u32 v40, v161, v43, 1                               // 000000008E60: D1FF0028 020657A1
	v_cndmask_b32_e64 v17, v40, v42, s[58:59]                  // 000000008E68: D1000011 00EA5528
	v_perm_b32 v152, v17, v16, s67                             // 000000008E70: D1ED0098 010E2111
	v_cmp_u_f32_e64 s[58:59], v162, v162                       // 000000008E78: D048003A 000345A2
	v_add3_u32 v40, v162, v43, 1                               // 000000008E80: D1FF0028 020657A2
	v_cndmask_b32_e64 v16, v40, v42, s[58:59]                  // 000000008E88: D1000010 00EA5528
	v_cmp_u_f32_e64 s[58:59], v163, v163                       // 000000008E90: D048003A 000347A3
	v_add3_u32 v40, v163, v43, 1                               // 000000008E98: D1FF0028 020657A3
	v_cndmask_b32_e64 v17, v40, v42, s[58:59]                  // 000000008EA0: D1000011 00EA5528
	v_perm_b32 v153, v17, v16, s67                             // 000000008EA8: D1ED0099 010E2111
	v_cmp_u_f32_e64 s[58:59], v164, v164                       // 000000008EB0: D048003A 000349A4
	v_add3_u32 v40, v164, v43, 1                               // 000000008EB8: D1FF0028 020657A4
	v_cndmask_b32_e64 v16, v40, v42, s[58:59]                  // 000000008EC0: D1000010 00EA5528
	v_cmp_u_f32_e64 s[58:59], v165, v165                       // 000000008EC8: D048003A 00034BA5
	v_add3_u32 v40, v165, v43, 1                               // 000000008ED0: D1FF0028 020657A5
	v_cndmask_b32_e64 v17, v40, v42, s[58:59]                  // 000000008ED8: D1000011 00EA5528
	v_perm_b32 v154, v17, v16, s67                             // 000000008EE0: D1ED009A 010E2111
	v_cmp_u_f32_e64 s[58:59], v166, v166                       // 000000008EE8: D048003A 00034DA6
	v_add3_u32 v40, v166, v43, 1                               // 000000008EF0: D1FF0028 020657A6
	v_cndmask_b32_e64 v16, v40, v42, s[58:59]                  // 000000008EF8: D1000010 00EA5528
	v_cmp_u_f32_e64 s[58:59], v167, v167                       // 000000008F00: D048003A 00034FA7
	v_add3_u32 v40, v167, v43, 1                               // 000000008F08: D1FF0028 020657A7
	v_cndmask_b32_e64 v17, v40, v42, s[58:59]                  // 000000008F10: D1000011 00EA5528
	v_perm_b32 v155, v17, v16, s67                             // 000000008F18: D1ED009B 010E2111
	v_cmp_u_f32_e64 s[58:59], v168, v168                       // 000000008F20: D048003A 000351A8
	v_add3_u32 v40, v168, v43, 1                               // 000000008F28: D1FF0028 020657A8
	v_cndmask_b32_e64 v16, v40, v42, s[58:59]                  // 000000008F30: D1000010 00EA5528
	v_cmp_u_f32_e64 s[58:59], v169, v169                       // 000000008F38: D048003A 000353A9
	v_add3_u32 v40, v169, v43, 1                               // 000000008F40: D1FF0028 020657A9
	v_cndmask_b32_e64 v17, v40, v42, s[58:59]                  // 000000008F48: D1000011 00EA5528
	v_perm_b32 v156, v17, v16, s67                             // 000000008F50: D1ED009C 010E2111
	v_cmp_u_f32_e64 s[58:59], v170, v170                       // 000000008F58: D048003A 000355AA
	v_add3_u32 v40, v170, v43, 1                               // 000000008F60: D1FF0028 020657AA
	v_cndmask_b32_e64 v16, v40, v42, s[58:59]                  // 000000008F68: D1000010 00EA5528
	v_cmp_u_f32_e64 s[58:59], v171, v171                       // 000000008F70: D048003A 000357AB
	v_add3_u32 v40, v171, v43, 1                               // 000000008F78: D1FF0028 020657AB
	v_cndmask_b32_e64 v17, v40, v42, s[58:59]                  // 000000008F80: D1000011 00EA5528
	v_perm_b32 v157, v17, v16, s67                             // 000000008F88: D1ED009D 010E2111
	v_cmp_u_f32_e64 s[58:59], v172, v172                       // 000000008F90: D048003A 000359AC
	v_add3_u32 v40, v172, v43, 1                               // 000000008F98: D1FF0028 020657AC
	v_cndmask_b32_e64 v16, v40, v42, s[58:59]                  // 000000008FA0: D1000010 00EA5528
	v_cmp_u_f32_e64 s[58:59], v173, v173                       // 000000008FA8: D048003A 00035BAD
	v_add3_u32 v40, v173, v43, 1                               // 000000008FB0: D1FF0028 020657AD
	v_cndmask_b32_e64 v17, v40, v42, s[58:59]                  // 000000008FB8: D1000011 00EA5528
	v_perm_b32 v158, v17, v16, s67                             // 000000008FC0: D1ED009E 010E2111
	v_cmp_u_f32_e64 s[58:59], v174, v174                       // 000000008FC8: D048003A 00035DAE
	v_add3_u32 v40, v174, v43, 1                               // 000000008FD0: D1FF0028 020657AE
	v_cndmask_b32_e64 v16, v40, v42, s[58:59]                  // 000000008FD8: D1000010 00EA5528
	v_cmp_u_f32_e64 s[58:59], v175, v175                       // 000000008FE0: D048003A 00035FAF
	v_add3_u32 v40, v175, v43, 1                               // 000000008FE8: D1FF0028 020657AF
	v_cndmask_b32_e64 v17, v40, v42, s[58:59]                  // 000000008FF0: D1000011 00EA5528
	v_perm_b32 v159, v17, v16, s67                             // 000000008FF8: D1ED009F 010E2111
	ds_write_b64 v35, v[144:145]                               // 000000009000: D89A0000 00009023
	ds_write_b64 v35, v[146:147] offset:528                    // 000000009008: D89A0210 00009223
	ds_write_b64 v35, v[148:149] offset:1056                   // 000000009010: D89A0420 00009423
	ds_write_b64 v35, v[150:151] offset:1584                   // 000000009018: D89A0630 00009623
	ds_write_b64 v35, v[152:153] offset:2112                   // 000000009020: D89A0840 00009823
	ds_write_b64 v35, v[154:155] offset:2640                   // 000000009028: D89A0A50 00009A23
	ds_write_b64 v35, v[156:157] offset:3168                   // 000000009030: D89A0C60 00009C23
	ds_write_b64 v35, v[158:159] offset:3696                   // 000000009038: D89A0E70 00009E23
	s_waitcnt vmcnt(0) expcnt(0) lgkmcnt(0)                    // 000000009040: BF8C0000
	ds_read_b64 v[144:145], v34                                // 000000009044: D8EC0000 90000022
	ds_read_b64 v[146:147], v34 offset:264                     // 00000000904C: D8EC0108 92000022
	ds_read_b64 v[148:149], v34 offset:64                      // 000000009054: D8EC0040 94000022
	ds_read_b64 v[150:151], v34 offset:328                     // 00000000905C: D8EC0148 96000022
	ds_read_b64 v[152:153], v34 offset:128                     // 000000009064: D8EC0080 98000022
	ds_read_b64 v[154:155], v34 offset:392                     // 00000000906C: D8EC0188 9A000022
	ds_read_b64 v[156:157], v34 offset:192                     // 000000009074: D8EC00C0 9C000022
	ds_read_b64 v[158:159], v34 offset:456                     // 00000000907C: D8EC01C8 9E000022
	s_waitcnt vmcnt(0) expcnt(0) lgkmcnt(0)                    // 000000009084: BF8C0000
	buffer_store_dwordx4 v[144:147], v8, s[20:23], 0 offen offset:128// 000000009088: E07C1080 80059008
	buffer_store_dwordx4 v[148:151], v9, s[20:23], 0 offen offset:128// 000000009090: E07C1080 80059409
	buffer_store_dwordx4 v[152:155], v10, s[20:23], 0 offen offset:128// 000000009098: E07C1080 8005980A
	buffer_store_dwordx4 v[156:159], v11, s[20:23], 0 offen offset:128// 0000000090A0: E07C1080 80059C0B
	s_cmp_eq_u32 s33, 0                                        // 0000000090A8: BF068021
	s_cbranch_scc1 label_1572                                  // 0000000090AC: BF850006
	v_cmp_ge_f32_e64 s[34:35], v2, v31                         // 0000000090B0: D0460022 00023F02
	v_cndmask_b32_e64 v2, v31, v2, s[34:35]                    // 0000000090B8: D1000002 008A051F
	buffer_store_dword v2, v3, s[24:27], 0 offen               // 0000000090C0: E0701000 80060203

00000000000090c8 <label_1572>:
	s_waitcnt vmcnt(0) expcnt(0) lgkmcnt(0)                    // 0000000090C8: BF8C0000
	s_barrier                                                  // 0000000090CC: BF8A0000
	s_addk_i32 s60, 0x1                                        // 0000000090D0: B73C0001
	s_add_u32 s34, s29, 0xff                                   // 0000000090D4: 8022FF1D 000000FF
	s_lshr_b32 s34, s34, 8                                     // 0000000090DC: 8F228822
	s_cmp_lt_u32 s34, 2                                        // 0000000090E0: BF0A8222
	s_cselect_b32 s60, 2, s60                                  // 0000000090E4: 853C3C82
	s_add_u32 s35, s29, 0xff                                   // 0000000090E8: 8023FF1D 000000FF
	s_lshr_b32 s34, s35, 8                                     // 0000000090F0: 8F228823
	s_sub_u32 s34, s34, 1                                      // 0000000090F4: 80A28122
	s_sub_u32 s2, s34, s2                                      // 0000000090F8: 80820222
	s_mul_i32 s64, 64, s40                                     // 0000000090FC: 924028C0
	s_mul_i32 s65, 64, s43                                     // 000000009100: 92412BC0
	s_and_b32 s36, 1, s31                                      // 000000009104: 86241F81
	s_cmp_lt_i32 s36, 1                                        // 000000009108: BF048124
	s_cbranch_scc1 label_1597                                  // 00000000910C: BF850013
	s_lshl_b32 s34, s2, 2                                      // 000000009110: 8E228202
	s_add_u32 s34, s34, 3                                      // 000000009114: 80228322
	s_sub_i32 s35, s7, s29                                     // 000000009118: 81A31D07
	s_addk_i32 s35, 0x3f                                       // 00000000911C: B723003F
	s_ashr_i32 s35, s35, 6                                     // 000000009120: 90238623
	s_add_i32 s34, s34, s35                                    // 000000009124: 81222322
	s_sub_u32 s35, s7, 1                                       // 000000009128: 80A38107
	s_lshr_b32 s35, s35, 6                                     // 00000000912C: 8F238623
	s_cmp_lt_i32 s34, s35                                      // 000000009130: BF042322
	s_cselect_b32 s34, s34, s35                                // 000000009134: 85222322
	s_cmp_lt_i32 s34, 0                                        // 000000009138: BF048022
	s_cselect_b32 s34, 0, s34                                  // 00000000913C: 85222280
	s_mul_i32 s57, s34, s64                                    // 000000009140: 92394022
	s_mul_i32 s32, s34, s65                                    // 000000009144: 92204122
	s_mul_i32 s72, s34, 64                                     // 000000009148: 9248C022
	s_sub_i32 s65, 0, s65                                      // 00000000914C: 81C14180
	s_sub_i32 s64, 0, s64                                      // 000000009150: 81C04080
	s_sub_i32 s73, 0, s73                                      // 000000009154: 81C94980
	s_branch label_159B                                        // 000000009158: BF820004

000000000000915c <label_1597>:
	s_mov_b32 s57, 0                                           // 00000000915C: BEB90080
	s_mov_b32 s32, 0                                           // 000000009160: BEA00080
	s_mov_b32 s72, 0                                           // 000000009164: BEC80080
	s_mov_b32 s73, 64                                          // 000000009168: BEC900C0

000000000000916c <label_159B>:
	s_cmp_lt_i32 s60, 2                                        // 00000000916C: BF04823C
	s_cbranch_scc1 label_0122                                  // 000000009170: BF85EB85
	s_waitcnt vmcnt(0) expcnt(0) lgkmcnt(0)                    // 000000009174: BF8C0000
	s_endpgm                                                   // 000000009178: BF810000
